;; amdgpu-corpus repo=ROCm/rocFFT kind=compiled arch=gfx1030 opt=O3
	.text
	.amdgcn_target "amdgcn-amd-amdhsa--gfx1030"
	.amdhsa_code_object_version 6
	.protected	bluestein_single_fwd_len1911_dim1_dp_op_CI_CI ; -- Begin function bluestein_single_fwd_len1911_dim1_dp_op_CI_CI
	.globl	bluestein_single_fwd_len1911_dim1_dp_op_CI_CI
	.p2align	8
	.type	bluestein_single_fwd_len1911_dim1_dp_op_CI_CI,@function
bluestein_single_fwd_len1911_dim1_dp_op_CI_CI: ; @bluestein_single_fwd_len1911_dim1_dp_op_CI_CI
; %bb.0:
	s_load_dwordx4 s[8:11], s[4:5], 0x28
	v_mul_u32_u24_e32 v1, 0x2d1, v0
	s_mov_b64 s[50:51], s[2:3]
	s_mov_b64 s[48:49], s[0:1]
	v_mov_b32_e32 v8, 0
	s_add_u32 s48, s48, s7
	v_lshrrev_b32_e32 v1, 16, v1
	s_addc_u32 s49, s49, 0
	s_mov_b32 s0, exec_lo
	v_add_nc_u32_e32 v7, s6, v1
	s_waitcnt lgkmcnt(0)
	v_cmpx_gt_u64_e64 s[8:9], v[7:8]
	s_cbranch_execz .LBB0_15
; %bb.1:
	s_clause 0x1
	s_load_dwordx4 s[0:3], s[4:5], 0x18
	s_load_dwordx2 s[6:7], s[4:5], 0x0
	v_mul_lo_u16 v1, 0x5b, v1
	v_mov_b32_e32 v8, v7
	v_sub_nc_u16 v2, v0, v1
	v_and_b32_e32 v9, 0xffff, v2
	v_lshlrev_b32_e32 v132, 4, v9
	s_waitcnt lgkmcnt(0)
	s_load_dwordx4 s[12:15], s[0:1], 0x0
	global_load_dwordx4 v[75:78], v132, s[6:7]
	v_add_co_u32 v112, s0, s6, v132
	v_add_co_ci_u32_e64 v113, null, s7, 0, s0
	v_add_co_u32 v10, vcc_lo, 0x800, v112
	v_add_co_ci_u32_e32 v11, vcc_lo, 0, v113, vcc_lo
	v_add_co_u32 v0, vcc_lo, 0x1000, v112
	v_add_co_ci_u32_e32 v1, vcc_lo, 0, v113, vcc_lo
	v_add_co_u32 v21, vcc_lo, 0x1800, v112
	v_add_co_ci_u32_e32 v22, vcc_lo, 0, v113, vcc_lo
	s_waitcnt lgkmcnt(0)
	v_mad_u64_u32 v[5:6], null, s12, v9, 0
	buffer_store_dword v8, off, s[48:51], 0 offset:164 ; 4-byte Folded Spill
	buffer_store_dword v9, off, s[48:51], 0 offset:168 ; 4-byte Folded Spill
	global_load_dwordx4 v[145:148], v[0:1], off offset:608
	v_add_co_u32 v19, vcc_lo, 0x2000, v112
	v_add_co_ci_u32_e32 v20, vcc_lo, 0, v113, vcc_lo
	v_add_co_u32 v15, vcc_lo, 0x2800, v112
	v_add_co_ci_u32_e32 v16, vcc_lo, 0, v113, vcc_lo
	;; [unrolled: 2-line block ×4, first 2 shown]
	v_mad_u64_u32 v[3:4], null, s14, v7, 0
	v_add_co_u32 v41, vcc_lo, 0x4800, v112
	v_add_co_ci_u32_e32 v42, vcc_lo, 0, v113, vcc_lo
	v_add_co_u32 v43, vcc_lo, 0x5000, v112
	v_mad_u64_u32 v[7:8], null, s15, v7, v[4:5]
	v_add_co_ci_u32_e32 v44, vcc_lo, 0, v113, vcc_lo
	s_mul_i32 s1, s13, 0x93
	s_mul_hi_u32 s6, s12, 0x93
	s_mul_i32 s0, s12, 0x93
	s_add_i32 s1, s6, s1
	v_mov_b32_e32 v4, v7
	s_lshl_b64 s[14:15], s[0:1], 4
	v_lshlrev_b64 v[0:1], 4, v[3:4]
	v_add_co_u32 v0, vcc_lo, s10, v0
	v_add_co_ci_u32_e32 v1, vcc_lo, s11, v1, vcc_lo
	buffer_store_dword v9, off, s[48:51], 0 ; 4-byte Folded Spill
	buffer_store_dword v10, off, s[48:51], 0 offset:100 ; 4-byte Folded Spill
	buffer_store_dword v11, off, s[48:51], 0 offset:104 ; 4-byte Folded Spill
	v_mad_u64_u32 v[8:9], null, s13, v9, v[6:7]
	v_mov_b32_e32 v6, v8
	v_lshlrev_b64 v[3:4], 4, v[5:6]
	v_add_co_u32 v0, vcc_lo, v0, v3
	v_add_co_ci_u32_e32 v1, vcc_lo, v1, v4, vcc_lo
	v_add_co_u32 v7, vcc_lo, v0, s14
	v_add_co_ci_u32_e32 v8, vcc_lo, s15, v1, vcc_lo
	global_load_dwordx4 v[79:82], v[10:11], off offset:304
	buffer_store_dword v21, off, s[48:51], 0 offset:156 ; 4-byte Folded Spill
	buffer_store_dword v22, off, s[48:51], 0 offset:160 ; 4-byte Folded Spill
	v_add_co_u32 v11, vcc_lo, v7, s14
	v_add_co_ci_u32_e32 v12, vcc_lo, s15, v8, vcc_lo
	global_load_dwordx4 v[141:144], v[21:22], off offset:912
	buffer_store_dword v19, off, s[48:51], 0 offset:132 ; 4-byte Folded Spill
	buffer_store_dword v20, off, s[48:51], 0 offset:136 ; 4-byte Folded Spill
	global_load_dwordx4 v[137:140], v[19:20], off offset:1216
	buffer_store_dword v15, off, s[48:51], 0 offset:124 ; 4-byte Folded Spill
	buffer_store_dword v16, off, s[48:51], 0 offset:128 ; 4-byte Folded Spill
	;; [unrolled: 3-line block ×3, first 2 shown]
	v_add_co_u32 v15, vcc_lo, v11, s14
	v_add_co_ci_u32_e32 v16, vcc_lo, s15, v12, vcc_lo
	v_add_co_u32 v19, vcc_lo, v15, s14
	v_add_co_ci_u32_e32 v20, vcc_lo, s15, v16, vcc_lo
	global_load_dwordx4 v[103:106], v[17:18], off offset:1824
	buffer_store_dword v13, off, s[48:51], 0 offset:92 ; 4-byte Folded Spill
	buffer_store_dword v14, off, s[48:51], 0 offset:96 ; 4-byte Folded Spill
	global_load_dwordx4 v[99:102], v[13:14], off offset:80
	s_clause 0x1
	global_load_dwordx4 v[3:6], v[0:1], off
	global_load_dwordx4 v[7:10], v[7:8], off
	v_add_co_u32 v0, vcc_lo, v19, s14
	v_add_co_ci_u32_e32 v1, vcc_lo, s15, v20, vcc_lo
	global_load_dwordx4 v[11:14], v[11:12], off
	v_add_co_u32 v27, vcc_lo, v0, s14
	v_add_co_ci_u32_e32 v28, vcc_lo, s15, v1, vcc_lo
	s_clause 0x1
	global_load_dwordx4 v[15:18], v[15:16], off
	global_load_dwordx4 v[19:22], v[19:20], off
	v_add_co_u32 v31, vcc_lo, v27, s14
	v_add_co_ci_u32_e32 v32, vcc_lo, s15, v28, vcc_lo
	global_load_dwordx4 v[23:26], v[0:1], off
	v_add_co_u32 v0, vcc_lo, v31, s14
	v_add_co_ci_u32_e32 v1, vcc_lo, s15, v32, vcc_lo
	global_load_dwordx4 v[27:30], v[27:28], off
	global_load_dwordx4 v[31:34], v[31:32], off
	v_add_co_u32 v39, vcc_lo, v0, s14
	global_load_dwordx4 v[35:38], v[0:1], off
	buffer_store_dword v41, off, s[48:51], 0 offset:84 ; 4-byte Folded Spill
	buffer_store_dword v42, off, s[48:51], 0 offset:88 ; 4-byte Folded Spill
	v_add_co_ci_u32_e32 v40, vcc_lo, s15, v1, vcc_lo
	v_add_co_u32 v47, vcc_lo, v39, s14
	v_add_co_ci_u32_e32 v48, vcc_lo, s15, v40, vcc_lo
	v_add_co_u32 v49, vcc_lo, 0x5800, v112
	v_add_co_ci_u32_e32 v50, vcc_lo, 0, v113, vcc_lo
	global_load_dwordx4 v[118:121], v[41:42], off offset:384
	global_load_dwordx4 v[39:42], v[39:40], off
	global_load_dwordx4 v[114:117], v[43:44], off offset:688
	global_load_dwordx4 v[43:46], v[47:48], off
	buffer_store_dword v49, off, s[48:51], 0 offset:148 ; 4-byte Folded Spill
	buffer_store_dword v50, off, s[48:51], 0 offset:152 ; 4-byte Folded Spill
	v_add_co_u32 v47, vcc_lo, v47, s14
	v_add_co_ci_u32_e32 v48, vcc_lo, s15, v48, vcc_lo
	v_add_co_u32 v53, vcc_lo, 0x6000, v112
	v_add_co_ci_u32_e32 v54, vcc_lo, 0, v113, vcc_lo
	;; [unrolled: 2-line block ×4, first 2 shown]
	s_waitcnt vmcnt(12)
	v_mul_f64 v[55:56], v[5:6], v[77:78]
	s_waitcnt vmcnt(11)
	v_mul_f64 v[59:60], v[9:10], v[81:82]
	v_mul_f64 v[57:58], v[3:4], v[77:78]
	;; [unrolled: 1-line block ×3, first 2 shown]
	s_waitcnt vmcnt(10)
	v_mul_f64 v[63:64], v[13:14], v[147:148]
	s_waitcnt vmcnt(9)
	v_mul_f64 v[67:68], v[17:18], v[143:144]
	;; [unrolled: 2-line block ×3, first 2 shown]
	v_mul_f64 v[65:66], v[11:12], v[147:148]
	v_mul_f64 v[69:70], v[15:16], v[143:144]
	;; [unrolled: 1-line block ×3, first 2 shown]
	v_cmp_gt_u16_e32 vcc_lo, 56, v2
	global_load_dwordx4 v[122:125], v[49:50], off offset:992
	global_load_dwordx4 v[47:50], v[47:48], off
	buffer_store_dword v53, off, s[48:51], 0 offset:140 ; 4-byte Folded Spill
	buffer_store_dword v54, off, s[48:51], 0 offset:144 ; 4-byte Folded Spill
	v_fma_f64 v[3:4], v[3:4], v[75:76], v[55:56]
	v_fma_f64 v[7:8], v[7:8], v[79:80], v[59:60]
	s_waitcnt vmcnt(9)
	v_mul_f64 v[55:56], v[25:26], v[109:110]
	s_waitcnt vmcnt(8)
	v_mul_f64 v[59:60], v[29:30], v[105:106]
	;; [unrolled: 2-line block ×3, first 2 shown]
	v_mul_f64 v[85:86], v[39:40], v[116:117]
	v_fma_f64 v[11:12], v[11:12], v[145:146], v[63:64]
	v_fma_f64 v[15:16], v[15:16], v[141:142], v[67:68]
	;; [unrolled: 1-line block ×4, first 2 shown]
	s_waitcnt vmcnt(1)
	v_mul_f64 v[87:88], v[45:46], v[124:125]
	global_load_dwordx4 v[126:129], v[53:54], off offset:1296
	buffer_store_dword v51, off, s[48:51], 0 offset:116 ; 4-byte Folded Spill
	buffer_store_dword v52, off, s[48:51], 0 offset:120 ; 4-byte Folded Spill
	v_mul_f64 v[89:90], v[43:44], v[124:125]
	global_load_dwordx4 v[133:136], v[51:52], off offset:1600
	global_load_dwordx4 v[51:54], v[0:1], off
	buffer_store_dword v75, off, s[48:51], 0 offset:172 ; 4-byte Folded Spill
	buffer_store_dword v76, off, s[48:51], 0 offset:176 ; 4-byte Folded Spill
	;; [unrolled: 1-line block ×8, first 2 shown]
	s_waitcnt vmcnt(2)
	v_mul_f64 v[91:92], v[49:50], v[128:129]
	v_mul_f64 v[77:78], v[31:32], v[101:102]
	;; [unrolled: 1-line block ×3, first 2 shown]
	buffer_store_dword v145, off, s[48:51], 0 offset:348 ; 4-byte Folded Spill
	buffer_store_dword v146, off, s[48:51], 0 offset:352 ; 4-byte Folded Spill
	;; [unrolled: 1-line block ×12, first 2 shown]
	v_fma_f64 v[43:44], v[43:44], v[122:123], v[87:88]
	v_mul_f64 v[93:94], v[47:48], v[128:129]
	v_fma_f64 v[47:48], v[47:48], v[126:127], v[91:92]
	v_fma_f64 v[5:6], v[5:6], v[75:76], -v[57:58]
	v_fma_f64 v[9:10], v[9:10], v[79:80], -v[61:62]
	v_mul_f64 v[75:76], v[33:34], v[101:102]
	v_mul_f64 v[79:80], v[37:38], v[120:121]
	s_waitcnt vmcnt(0)
	v_mul_f64 v[95:96], v[53:54], v[135:136]
	v_mul_f64 v[57:58], v[23:24], v[109:110]
	;; [unrolled: 1-line block ×3, first 2 shown]
	v_fma_f64 v[23:24], v[23:24], v[107:108], v[55:56]
	buffer_store_dword v107, off, s[48:51], 0 offset:220 ; 4-byte Folded Spill
	buffer_store_dword v108, off, s[48:51], 0 offset:224 ; 4-byte Folded Spill
	;; [unrolled: 1-line block ×4, first 2 shown]
	v_fma_f64 v[27:28], v[27:28], v[103:104], v[59:60]
	buffer_store_dword v103, off, s[48:51], 0 offset:204 ; 4-byte Folded Spill
	buffer_store_dword v104, off, s[48:51], 0 offset:208 ; 4-byte Folded Spill
	;; [unrolled: 1-line block ×4, first 2 shown]
	v_mul_f64 v[97:98], v[51:52], v[135:136]
	v_fma_f64 v[13:14], v[13:14], v[145:146], -v[65:66]
	v_fma_f64 v[17:18], v[17:18], v[141:142], -v[69:70]
	;; [unrolled: 1-line block ×3, first 2 shown]
	v_fma_f64 v[31:32], v[31:32], v[99:100], v[75:76]
	buffer_store_dword v99, off, s[48:51], 0 offset:188 ; 4-byte Folded Spill
	buffer_store_dword v100, off, s[48:51], 0 offset:192 ; 4-byte Folded Spill
	;; [unrolled: 1-line block ×4, first 2 shown]
	v_fma_f64 v[35:36], v[35:36], v[118:119], v[79:80]
	buffer_store_dword v118, off, s[48:51], 0 offset:252 ; 4-byte Folded Spill
	buffer_store_dword v119, off, s[48:51], 0 offset:256 ; 4-byte Folded Spill
	;; [unrolled: 1-line block ×16, first 2 shown]
	v_fma_f64 v[51:52], v[51:52], v[133:134], v[95:96]
	buffer_store_dword v133, off, s[48:51], 0 offset:300 ; 4-byte Folded Spill
	buffer_store_dword v134, off, s[48:51], 0 offset:304 ; 4-byte Folded Spill
	;; [unrolled: 1-line block ×4, first 2 shown]
	s_load_dwordx2 s[6:7], s[4:5], 0x38
	s_load_dwordx4 s[8:11], s[2:3], 0x0
	v_fma_f64 v[25:26], v[25:26], v[107:108], -v[57:58]
	v_fma_f64 v[29:30], v[29:30], v[103:104], -v[61:62]
	;; [unrolled: 1-line block ×7, first 2 shown]
	ds_write_b128 v132, v[3:6]
	ds_write_b128 v132, v[7:10] offset:2352
	ds_write_b128 v132, v[11:14] offset:4704
	;; [unrolled: 1-line block ×8, first 2 shown]
	v_fma_f64 v[53:54], v[53:54], v[133:134], -v[97:98]
	ds_write_b128 v132, v[39:42] offset:21168
	ds_write_b128 v132, v[43:46] offset:23520
	;; [unrolled: 1-line block ×4, first 2 shown]
	s_and_saveexec_b32 s1, vcc_lo
	s_cbranch_execz .LBB0_3
; %bb.2:
	v_mad_u64_u32 v[24:25], null, 0xffff9770, s12, v[0:1]
	global_load_dwordx4 v[0:3], v[112:113], off offset:1456
	s_clause 0x1
	buffer_load_dword v4, off, s[48:51], 0 offset:100
	buffer_load_dword v5, off, s[48:51], 0 offset:104
	s_mul_i32 s0, s13, 0xffff9770
	s_sub_i32 s0, s0, s12
	v_add_nc_u32_e32 v25, s0, v25
	v_add_co_u32 v28, s0, v24, s14
	v_add_co_ci_u32_e64 v29, s0, s15, v25, s0
	v_add_co_u32 v32, s0, v28, s14
	v_add_co_ci_u32_e64 v33, s0, s15, v29, s0
	;; [unrolled: 2-line block ×14, first 2 shown]
	s_waitcnt vmcnt(0)
	global_load_dwordx4 v[4:7], v[4:5], off offset:1760
	s_clause 0x1
	buffer_load_dword v8, off, s[48:51], 0 offset:156
	buffer_load_dword v9, off, s[48:51], 0 offset:160
	s_waitcnt vmcnt(0)
	global_load_dwordx4 v[8:11], v[8:9], off offset:16
	s_clause 0x1
	buffer_load_dword v12, off, s[48:51], 0 offset:132
	buffer_load_dword v13, off, s[48:51], 0 offset:136
	s_waitcnt vmcnt(0)
	global_load_dwordx4 v[12:15], v[12:13], off offset:320
	s_clause 0x1
	buffer_load_dword v16, off, s[48:51], 0 offset:124
	buffer_load_dword v17, off, s[48:51], 0 offset:128
	s_waitcnt vmcnt(0)
	global_load_dwordx4 v[16:19], v[16:17], off offset:624
	s_clause 0x1
	buffer_load_dword v20, off, s[48:51], 0 offset:108
	buffer_load_dword v21, off, s[48:51], 0 offset:112
	global_load_dwordx4 v[24:27], v[24:25], off
	global_load_dwordx4 v[28:31], v[28:29], off
	s_waitcnt vmcnt(2)
	global_load_dwordx4 v[20:23], v[20:21], off offset:928
	global_load_dwordx4 v[32:35], v[32:33], off
	global_load_dwordx4 v[36:39], v[36:37], off
	global_load_dwordx4 v[40:43], v[40:41], off
	global_load_dwordx4 v[44:47], v[44:45], off
	global_load_dwordx4 v[48:51], v[52:53], off
	global_load_dwordx4 v[52:55], v[54:55], off offset:1232
	global_load_dwordx4 v[56:59], v[56:57], off
	global_load_dwordx4 v[60:63], v[60:61], off
	s_clause 0x1
	buffer_load_dword v64, off, s[48:51], 0 offset:92
	buffer_load_dword v65, off, s[48:51], 0 offset:96
	s_waitcnt vmcnt(12)
	v_mul_f64 v[104:105], v[26:27], v[2:3]
	v_mul_f64 v[2:3], v[24:25], v[2:3]
	s_waitcnt vmcnt(11)
	v_mul_f64 v[106:107], v[30:31], v[6:7]
	v_mul_f64 v[6:7], v[28:29], v[6:7]
	v_fma_f64 v[24:25], v[24:25], v[0:1], v[104:105]
	v_fma_f64 v[26:27], v[26:27], v[0:1], -v[2:3]
	v_fma_f64 v[0:1], v[28:29], v[4:5], v[106:107]
	v_fma_f64 v[2:3], v[30:31], v[4:5], -v[6:7]
	s_waitcnt vmcnt(9)
	v_mul_f64 v[108:109], v[34:35], v[10:11]
	v_mul_f64 v[10:11], v[32:33], v[10:11]
	s_waitcnt vmcnt(8)
	v_mul_f64 v[110:111], v[38:39], v[14:15]
	v_mul_f64 v[14:15], v[36:37], v[14:15]
	;; [unrolled: 3-line block ×4, first 2 shown]
	s_waitcnt vmcnt(0)
	global_load_dwordx4 v[64:67], v[64:65], off offset:1536
	s_clause 0x1
	buffer_load_dword v68, off, s[48:51], 0 offset:84
	buffer_load_dword v69, off, s[48:51], 0 offset:88
	v_mul_f64 v[28:29], v[50:51], v[54:55]
	v_mul_f64 v[30:31], v[48:49], v[54:55]
	s_waitcnt vmcnt(0)
	global_load_dwordx4 v[68:71], v[68:69], off offset:1840
	global_load_dwordx4 v[72:75], v[72:73], off
	s_clause 0x1
	buffer_load_dword v76, off, s[48:51], 0 offset:148
	buffer_load_dword v77, off, s[48:51], 0 offset:152
	v_mul_f64 v[54:55], v[58:59], v[66:67]
	v_mul_f64 v[66:67], v[56:57], v[66:67]
	v_fma_f64 v[4:5], v[32:33], v[8:9], v[108:109]
	v_fma_f64 v[6:7], v[34:35], v[8:9], -v[10:11]
	v_fma_f64 v[8:9], v[36:37], v[12:13], v[110:111]
	v_fma_f64 v[10:11], v[38:39], v[12:13], -v[14:15]
	;; [unrolled: 2-line block ×5, first 2 shown]
	s_waitcnt vmcnt(0)
	global_load_dwordx4 v[76:79], v[76:77], off offset:96
	global_load_dwordx4 v[80:83], v[84:85], off
	s_clause 0x1
	buffer_load_dword v84, off, s[48:51], 0 offset:140
	buffer_load_dword v85, off, s[48:51], 0 offset:144
	v_mul_f64 v[106:107], v[62:63], v[70:71]
	v_mul_f64 v[70:71], v[60:61], v[70:71]
	v_fma_f64 v[28:29], v[56:57], v[64:65], v[54:55]
	v_fma_f64 v[30:31], v[58:59], v[64:65], -v[66:67]
	s_waitcnt vmcnt(0)
	global_load_dwordx4 v[84:87], v[84:85], off offset:400
	global_load_dwordx4 v[88:91], v[88:89], off
	s_clause 0x1
	buffer_load_dword v92, off, s[48:51], 0 offset:116
	buffer_load_dword v93, off, s[48:51], 0 offset:120
	v_mul_f64 v[116:117], v[74:75], v[78:79]
	v_mul_f64 v[78:79], v[72:73], v[78:79]
	v_fma_f64 v[32:33], v[60:61], v[68:69], v[106:107]
	v_fma_f64 v[34:35], v[62:63], v[68:69], -v[70:71]
	s_waitcnt vmcnt(0)
	s_clause 0x1
	global_load_dwordx4 v[92:95], v[92:93], off offset:704
	global_load_dwordx4 v[96:99], v[96:97], off offset:1008
	global_load_dwordx4 v[100:103], v[100:101], off
	v_mul_f64 v[118:119], v[82:83], v[86:87]
	v_mul_f64 v[86:87], v[80:81], v[86:87]
	v_fma_f64 v[36:37], v[72:73], v[76:77], v[116:117]
	v_fma_f64 v[38:39], v[74:75], v[76:77], -v[78:79]
	v_fma_f64 v[40:41], v[80:81], v[84:85], v[118:119]
	v_fma_f64 v[42:43], v[82:83], v[84:85], -v[86:87]
	s_waitcnt vmcnt(2)
	v_mul_f64 v[120:121], v[90:91], v[94:95]
	v_mul_f64 v[94:95], v[88:89], v[94:95]
	s_waitcnt vmcnt(0)
	v_mul_f64 v[122:123], v[102:103], v[98:99]
	v_mul_f64 v[98:99], v[100:101], v[98:99]
	v_fma_f64 v[44:45], v[88:89], v[92:93], v[120:121]
	v_fma_f64 v[46:47], v[90:91], v[92:93], -v[94:95]
	v_fma_f64 v[48:49], v[100:101], v[96:97], v[122:123]
	v_fma_f64 v[50:51], v[102:103], v[96:97], -v[98:99]
	ds_write_b128 v132, v[24:27] offset:1456
	ds_write_b128 v132, v[0:3] offset:3808
	;; [unrolled: 1-line block ×13, first 2 shown]
.LBB0_3:
	s_or_b32 exec_lo, exec_lo, s1
	s_waitcnt lgkmcnt(0)
	s_waitcnt_vscnt null, 0x0
	s_barrier
	buffer_gl0_inv
	ds_read_b128 v[24:27], v132
	ds_read_b128 v[32:35], v132 offset:2352
	ds_read_b128 v[36:39], v132 offset:4704
	;; [unrolled: 1-line block ×12, first 2 shown]
	s_load_dwordx2 s[2:3], s[4:5], 0x8
                                        ; implicit-def: $vgpr8_vgpr9
                                        ; implicit-def: $vgpr76_vgpr77
                                        ; implicit-def: $vgpr80_vgpr81
                                        ; implicit-def: $vgpr84_vgpr85
                                        ; implicit-def: $vgpr92_vgpr93
                                        ; implicit-def: $vgpr96_vgpr97
                                        ; implicit-def: $vgpr88_vgpr89
                                        ; implicit-def: $vgpr72_vgpr73
                                        ; implicit-def: $vgpr20_vgpr21
                                        ; implicit-def: $vgpr16_vgpr17
                                        ; implicit-def: $vgpr12_vgpr13
                                        ; implicit-def: $vgpr4_vgpr5
                                        ; implicit-def: $vgpr0_vgpr1
	s_and_saveexec_b32 s0, vcc_lo
	s_cbranch_execz .LBB0_5
; %bb.4:
	ds_read_b128 v[8:11], v132 offset:1456
	ds_read_b128 v[76:79], v132 offset:3808
	;; [unrolled: 1-line block ×13, first 2 shown]
.LBB0_5:
	s_or_b32 exec_lo, exec_lo, s0
	s_waitcnt lgkmcnt(0)
	v_add_f64 v[44:45], v[24:25], v[32:33]
	v_add_f64 v[46:47], v[26:27], v[34:35]
	v_add_f64 v[116:117], v[106:107], -v[110:111]
	v_add_f64 v[114:115], v[104:105], -v[108:109]
	;; [unrolled: 1-line block ×5, first 2 shown]
	v_add_f64 v[118:119], v[36:37], v[52:53]
	v_add_f64 v[126:127], v[36:37], -v[52:53]
	s_mov_b32 s28, 0x4267c47c
	s_mov_b32 s26, 0x42a4c3d2
	;; [unrolled: 1-line block ×12, first 2 shown]
	v_add_f64 v[124:125], v[42:43], -v[58:59]
	v_add_f64 v[44:45], v[44:45], v[36:37]
	v_add_f64 v[46:47], v[46:47], v[38:39]
	v_add_f64 v[128:129], v[38:39], -v[54:55]
	v_add_f64 v[34:35], v[34:35], v[30:31]
	s_mov_b32 s12, 0xe00740e9
	v_mul_f64 v[50:51], v[48:49], s[18:19]
	s_mov_b32 s16, 0x1ea71119
	s_mov_b32 s0, 0xebaa3ed8
	;; [unrolled: 1-line block ×16, first 2 shown]
	v_add_f64 v[44:45], v[44:45], v[40:41]
	v_add_f64 v[46:47], v[46:47], v[42:43]
	s_mov_b32 s36, s28
	s_mov_b32 s41, 0x3fedeba7
	;; [unrolled: 1-line block ×7, first 2 shown]
	v_add_f64 v[198:199], v[76:77], -v[0:1]
	v_add_f64 v[184:185], v[78:79], v[2:3]
	v_add_f64 v[174:175], v[96:97], -v[20:21]
	v_add_f64 v[190:191], v[88:89], -v[72:73]
	v_add_f64 v[44:45], v[44:45], v[60:61]
	v_add_f64 v[46:47], v[46:47], v[62:63]
	v_mul_f64 v[186:187], v[198:199], s[28:29]
	v_mul_f64 v[224:225], v[198:199], s[26:27]
	;; [unrolled: 1-line block ×5, first 2 shown]
	v_add_f64 v[44:45], v[44:45], v[64:65]
	v_add_f64 v[46:47], v[46:47], v[66:67]
	;; [unrolled: 1-line block ×8, first 2 shown]
	v_add_f64 v[110:111], v[66:67], -v[102:103]
	v_add_f64 v[108:109], v[64:65], -v[100:101]
	v_add_f64 v[44:45], v[44:45], v[100:101]
	v_add_f64 v[46:47], v[46:47], v[102:103]
	;; [unrolled: 1-line block ×9, first 2 shown]
	v_add_f64 v[68:69], v[60:61], -v[68:69]
	v_add_f64 v[60:61], v[42:43], v[58:59]
	v_add_f64 v[70:71], v[38:39], v[54:55]
	;; [unrolled: 1-line block ×3, first 2 shown]
	v_add_f64 v[32:33], v[32:33], -v[28:29]
	v_mul_f64 v[42:43], v[48:49], s[28:29]
	v_add_f64 v[44:45], v[44:45], v[56:57]
	v_add_f64 v[46:47], v[46:47], v[58:59]
	v_fma_f64 v[56:57], v[38:39], s[20:21], -v[50:51]
	v_fma_f64 v[50:51], v[38:39], s[20:21], v[50:51]
	v_mul_f64 v[133:134], v[32:33], s[26:27]
	v_mul_f64 v[135:136], v[32:33], s[24:25]
	;; [unrolled: 1-line block ×4, first 2 shown]
	v_add_f64 v[36:37], v[44:45], v[52:53]
	v_add_f64 v[40:41], v[46:47], v[54:55]
	v_mul_f64 v[44:45], v[48:49], s[26:27]
	v_mul_f64 v[46:47], v[48:49], s[24:25]
	v_add_f64 v[56:57], v[24:25], v[56:57]
	v_add_f64 v[165:166], v[24:25], v[50:51]
	v_fma_f64 v[143:144], v[34:35], s[16:17], v[133:134]
	v_fma_f64 v[145:146], v[34:35], s[0:1], v[135:136]
	v_fma_f64 v[135:136], v[34:35], s[0:1], -v[135:136]
	v_fma_f64 v[147:148], v[34:35], s[20:21], v[137:138]
	v_fma_f64 v[137:138], v[34:35], s[20:21], -v[137:138]
	v_fma_f64 v[133:134], v[34:35], s[16:17], -v[133:134]
	v_fma_f64 v[149:150], v[34:35], s[14:15], v[139:140]
	v_fma_f64 v[151:152], v[34:35], s[14:15], -v[139:140]
	v_mul_f64 v[50:51], v[120:121], s[18:19]
	v_add_f64 v[28:29], v[36:37], v[28:29]
	v_add_f64 v[30:31], v[40:41], v[30:31]
	v_mul_f64 v[36:37], v[48:49], s[22:23]
	v_mul_f64 v[40:41], v[48:49], s[30:31]
	v_fma_f64 v[48:49], v[38:39], s[12:13], -v[42:43]
	v_fma_f64 v[42:43], v[38:39], s[12:13], v[42:43]
	v_fma_f64 v[52:53], v[38:39], s[16:17], -v[44:45]
	v_fma_f64 v[44:45], v[38:39], s[16:17], v[44:45]
	;; [unrolled: 2-line block ×3, first 2 shown]
	v_add_f64 v[155:156], v[26:27], v[143:144]
	v_add_f64 v[159:160], v[26:27], v[145:146]
	;; [unrolled: 1-line block ×7, first 2 shown]
	v_fma_f64 v[58:59], v[38:39], s[14:15], -v[36:37]
	v_fma_f64 v[36:37], v[38:39], s[14:15], v[36:37]
	v_fma_f64 v[130:131], v[38:39], s[4:5], -v[40:41]
	v_fma_f64 v[38:39], v[38:39], s[4:5], v[40:41]
	v_mul_f64 v[40:41], v[32:33], s[28:29]
	v_mul_f64 v[32:33], v[32:33], s[30:31]
	v_add_f64 v[42:43], v[24:25], v[42:43]
	v_add_f64 v[52:53], v[24:25], v[52:53]
	;; [unrolled: 1-line block ×6, first 2 shown]
	v_mul_f64 v[58:59], v[68:69], s[18:19]
	v_add_f64 v[136:137], v[24:25], v[130:131]
	v_add_f64 v[146:147], v[24:25], v[38:39]
	v_fma_f64 v[141:142], v[34:35], s[12:13], v[40:41]
	v_fma_f64 v[40:41], v[34:35], s[12:13], -v[40:41]
	v_fma_f64 v[153:154], v[34:35], s[4:5], v[32:33]
	v_fma_f64 v[32:33], v[34:35], s[4:5], -v[32:33]
	v_add_f64 v[34:35], v[24:25], v[48:49]
	v_mul_f64 v[38:39], v[124:125], s[24:25]
	v_add_f64 v[48:49], v[26:27], v[141:142]
	v_add_f64 v[140:141], v[24:25], v[36:37]
	v_mul_f64 v[24:25], v[128:129], s[26:27]
	v_mul_f64 v[36:37], v[126:127], s[26:27]
	v_add_f64 v[40:41], v[26:27], v[40:41]
	v_add_f64 v[142:143], v[26:27], v[149:150]
	v_add_f64 v[134:135], v[26:27], v[153:154]
	v_add_f64 v[130:131], v[26:27], v[32:33]
	v_mul_f64 v[148:149], v[110:111], s[22:23]
	v_mul_f64 v[150:151], v[108:109], s[22:23]
	;; [unrolled: 1-line block ×3, first 2 shown]
	v_fma_f64 v[26:27], v[118:119], s[16:17], -v[24:25]
	v_fma_f64 v[32:33], v[70:71], s[16:17], v[36:37]
	v_fma_f64 v[24:25], v[118:119], s[16:17], v[24:25]
	v_fma_f64 v[36:37], v[70:71], s[16:17], -v[36:37]
	v_add_f64 v[26:27], v[26:27], v[34:35]
	v_add_f64 v[32:33], v[32:33], v[48:49]
	v_fma_f64 v[34:35], v[62:63], s[0:1], -v[38:39]
	v_mul_f64 v[48:49], v[122:123], s[24:25]
	v_add_f64 v[24:25], v[24:25], v[42:43]
	v_fma_f64 v[38:39], v[62:63], s[0:1], v[38:39]
	v_add_f64 v[36:37], v[36:37], v[40:41]
	v_add_f64 v[26:27], v[34:35], v[26:27]
	v_fma_f64 v[34:35], v[60:61], s[0:1], v[48:49]
	v_add_f64 v[24:25], v[38:39], v[24:25]
	v_fma_f64 v[38:39], v[60:61], s[0:1], -v[48:49]
	v_mul_f64 v[48:49], v[126:127], s[18:19]
	v_add_f64 v[32:33], v[34:35], v[32:33]
	v_fma_f64 v[34:35], v[102:103], s[20:21], -v[50:51]
	v_add_f64 v[36:37], v[38:39], v[36:37]
	v_fma_f64 v[38:39], v[102:103], s[20:21], v[50:51]
	v_mul_f64 v[50:51], v[124:125], s[30:31]
	v_fma_f64 v[40:41], v[70:71], s[20:21], v[48:49]
	v_add_f64 v[26:27], v[34:35], v[26:27]
	v_fma_f64 v[34:35], v[66:67], s[20:21], v[58:59]
	v_add_f64 v[24:25], v[38:39], v[24:25]
	v_fma_f64 v[38:39], v[66:67], s[20:21], -v[58:59]
	v_fma_f64 v[42:43], v[62:63], s[4:5], -v[50:51]
	v_add_f64 v[40:41], v[40:41], v[155:156]
	v_mul_f64 v[58:59], v[120:121], s[38:39]
	v_mul_f64 v[154:155], v[116:117], s[36:37]
	v_add_f64 v[32:33], v[34:35], v[32:33]
	v_fma_f64 v[34:35], v[100:101], s[14:15], -v[148:149]
	v_add_f64 v[36:37], v[38:39], v[36:37]
	v_fma_f64 v[38:39], v[100:101], s[14:15], v[148:149]
	v_mul_f64 v[148:149], v[68:69], s[38:39]
	v_add_f64 v[26:27], v[34:35], v[26:27]
	v_fma_f64 v[34:35], v[64:65], s[14:15], v[150:151]
	v_add_f64 v[24:25], v[38:39], v[24:25]
	v_fma_f64 v[38:39], v[64:65], s[14:15], -v[150:151]
	v_mul_f64 v[150:151], v[110:111], s[34:35]
	v_add_f64 v[34:35], v[34:35], v[32:33]
	v_fma_f64 v[32:33], v[104:105], s[4:5], -v[152:153]
	v_add_f64 v[36:37], v[38:39], v[36:37]
	v_fma_f64 v[38:39], v[104:105], s[4:5], v[152:153]
	v_mul_f64 v[152:153], v[108:109], s[34:35]
	v_add_f64 v[32:33], v[32:33], v[26:27]
	v_mul_f64 v[26:27], v[114:115], s[30:31]
	v_add_f64 v[24:25], v[38:39], v[24:25]
	v_fma_f64 v[169:170], v[106:107], s[4:5], v[26:27]
	v_fma_f64 v[26:27], v[106:107], s[4:5], -v[26:27]
	v_add_f64 v[34:35], v[169:170], v[34:35]
	v_add_f64 v[26:27], v[26:27], v[36:37]
	v_mul_f64 v[36:37], v[128:129], s[18:19]
	v_fma_f64 v[38:39], v[118:119], s[20:21], -v[36:37]
	v_fma_f64 v[36:37], v[118:119], s[20:21], v[36:37]
	v_add_f64 v[38:39], v[38:39], v[52:53]
	v_mul_f64 v[52:53], v[122:123], s[30:31]
	v_add_f64 v[36:37], v[36:37], v[44:45]
	v_fma_f64 v[44:45], v[70:71], s[20:21], -v[48:49]
	v_fma_f64 v[48:49], v[62:63], s[4:5], v[50:51]
	v_add_f64 v[38:39], v[42:43], v[38:39]
	v_fma_f64 v[42:43], v[60:61], s[4:5], v[52:53]
	v_add_f64 v[44:45], v[44:45], v[157:158]
	v_add_f64 v[36:37], v[48:49], v[36:37]
	v_fma_f64 v[48:49], v[60:61], s[4:5], -v[52:53]
	v_mul_f64 v[52:53], v[126:127], s[30:31]
	v_add_f64 v[40:41], v[42:43], v[40:41]
	v_fma_f64 v[42:43], v[102:103], s[14:15], -v[58:59]
	v_add_f64 v[44:45], v[48:49], v[44:45]
	v_fma_f64 v[48:49], v[102:103], s[14:15], v[58:59]
	v_fma_f64 v[50:51], v[70:71], s[4:5], v[52:53]
	v_add_f64 v[38:39], v[42:43], v[38:39]
	v_fma_f64 v[42:43], v[66:67], s[14:15], v[148:149]
	v_add_f64 v[36:37], v[48:49], v[36:37]
	v_fma_f64 v[48:49], v[66:67], s[14:15], -v[148:149]
	v_add_f64 v[50:51], v[50:51], v[159:160]
	v_add_f64 v[40:41], v[42:43], v[40:41]
	v_fma_f64 v[42:43], v[100:101], s[0:1], -v[150:151]
	v_add_f64 v[44:45], v[48:49], v[44:45]
	v_fma_f64 v[48:49], v[100:101], s[0:1], v[150:151]
	v_add_f64 v[38:39], v[42:43], v[38:39]
	v_fma_f64 v[42:43], v[64:65], s[0:1], v[152:153]
	v_add_f64 v[36:37], v[48:49], v[36:37]
	v_fma_f64 v[48:49], v[64:65], s[0:1], -v[152:153]
	v_add_f64 v[42:43], v[42:43], v[40:41]
	v_fma_f64 v[40:41], v[104:105], s[12:13], -v[154:155]
	v_add_f64 v[44:45], v[48:49], v[44:45]
	v_fma_f64 v[48:49], v[104:105], s[12:13], v[154:155]
	v_add_f64 v[40:41], v[40:41], v[38:39]
	v_mul_f64 v[38:39], v[114:115], s[36:37]
	v_add_f64 v[36:37], v[48:49], v[36:37]
	v_fma_f64 v[169:170], v[106:107], s[12:13], v[38:39]
	v_fma_f64 v[38:39], v[106:107], s[12:13], -v[38:39]
	v_add_f64 v[42:43], v[169:170], v[42:43]
	v_add_f64 v[38:39], v[38:39], v[44:45]
	v_mul_f64 v[44:45], v[128:129], s[30:31]
	v_fma_f64 v[48:49], v[118:119], s[4:5], -v[44:45]
	v_fma_f64 v[44:45], v[118:119], s[4:5], v[44:45]
	v_add_f64 v[48:49], v[48:49], v[54:55]
	v_mul_f64 v[54:55], v[124:125], s[40:41]
	v_add_f64 v[44:45], v[44:45], v[46:47]
	v_fma_f64 v[46:47], v[70:71], s[4:5], -v[52:53]
	v_fma_f64 v[58:59], v[62:63], s[20:21], -v[54:55]
	v_fma_f64 v[52:53], v[62:63], s[20:21], v[54:55]
	v_add_f64 v[46:47], v[46:47], v[161:162]
	v_add_f64 v[48:49], v[58:59], v[48:49]
	v_mul_f64 v[58:59], v[122:123], s[40:41]
	v_add_f64 v[44:45], v[52:53], v[44:45]
	v_fma_f64 v[148:149], v[60:61], s[20:21], v[58:59]
	v_fma_f64 v[52:53], v[60:61], s[20:21], -v[58:59]
	v_mul_f64 v[58:59], v[128:129], s[38:39]
	v_add_f64 v[50:51], v[148:149], v[50:51]
	v_mul_f64 v[148:149], v[120:121], s[36:37]
	v_add_f64 v[46:47], v[52:53], v[46:47]
	v_fma_f64 v[150:151], v[102:103], s[12:13], -v[148:149]
	v_fma_f64 v[52:53], v[102:103], s[12:13], v[148:149]
	v_mul_f64 v[148:149], v[124:125], s[36:37]
	v_add_f64 v[48:49], v[150:151], v[48:49]
	v_mul_f64 v[150:151], v[68:69], s[36:37]
	v_add_f64 v[44:45], v[52:53], v[44:45]
	v_fma_f64 v[152:153], v[66:67], s[12:13], v[150:151]
	v_fma_f64 v[52:53], v[66:67], s[12:13], -v[150:151]
	v_fma_f64 v[150:151], v[62:63], s[12:13], -v[148:149]
	v_fma_f64 v[148:149], v[62:63], s[12:13], v[148:149]
	v_add_f64 v[50:51], v[152:153], v[50:51]
	v_mul_f64 v[152:153], v[110:111], s[26:27]
	v_add_f64 v[46:47], v[52:53], v[46:47]
	v_fma_f64 v[154:155], v[100:101], s[16:17], -v[152:153]
	v_fma_f64 v[52:53], v[100:101], s[16:17], v[152:153]
	v_add_f64 v[48:49], v[154:155], v[48:49]
	v_mul_f64 v[154:155], v[108:109], s[26:27]
	v_add_f64 v[44:45], v[52:53], v[44:45]
	v_fma_f64 v[156:157], v[64:65], s[16:17], v[154:155]
	v_fma_f64 v[52:53], v[64:65], s[16:17], -v[154:155]
	v_add_f64 v[50:51], v[156:157], v[50:51]
	v_mul_f64 v[156:157], v[116:117], s[22:23]
	v_add_f64 v[46:47], v[52:53], v[46:47]
	v_fma_f64 v[158:159], v[104:105], s[14:15], -v[156:157]
	v_fma_f64 v[52:53], v[104:105], s[14:15], v[156:157]
	v_add_f64 v[48:49], v[158:159], v[48:49]
	v_mul_f64 v[158:159], v[114:115], s[22:23]
	v_add_f64 v[44:45], v[52:53], v[44:45]
	v_fma_f64 v[52:53], v[118:119], s[14:15], -v[58:59]
	v_fma_f64 v[58:59], v[118:119], s[14:15], v[58:59]
	v_fma_f64 v[54:55], v[106:107], s[14:15], -v[158:159]
	v_fma_f64 v[169:170], v[106:107], s[14:15], v[158:159]
	v_add_f64 v[52:53], v[52:53], v[56:57]
	v_mul_f64 v[56:57], v[126:127], s[38:39]
	v_add_f64 v[58:59], v[58:59], v[165:166]
	v_add_f64 v[46:47], v[54:55], v[46:47]
	;; [unrolled: 1-line block ×4, first 2 shown]
	v_fma_f64 v[54:55], v[70:71], s[14:15], v[56:57]
	v_mul_f64 v[150:151], v[122:123], s[36:37]
	v_fma_f64 v[56:57], v[70:71], s[14:15], -v[56:57]
	v_add_f64 v[58:59], v[148:149], v[58:59]
	v_add_f64 v[54:55], v[54:55], v[163:164]
	v_fma_f64 v[152:153], v[60:61], s[12:13], v[150:151]
	v_add_f64 v[56:57], v[56:57], v[167:168]
	v_fma_f64 v[148:149], v[60:61], s[12:13], -v[150:151]
	v_mul_f64 v[166:167], v[116:117], s[18:19]
	v_add_f64 v[54:55], v[152:153], v[54:55]
	v_mul_f64 v[152:153], v[120:121], s[24:25]
	v_add_f64 v[56:57], v[148:149], v[56:57]
	v_fma_f64 v[154:155], v[102:103], s[0:1], -v[152:153]
	v_fma_f64 v[148:149], v[102:103], s[0:1], v[152:153]
	v_add_f64 v[52:53], v[154:155], v[52:53]
	v_mul_f64 v[154:155], v[68:69], s[24:25]
	v_add_f64 v[58:59], v[148:149], v[58:59]
	v_fma_f64 v[156:157], v[66:67], s[0:1], v[154:155]
	v_fma_f64 v[148:149], v[66:67], s[0:1], -v[154:155]
	v_add_f64 v[54:55], v[156:157], v[54:55]
	v_mul_f64 v[156:157], v[110:111], s[44:45]
	v_add_f64 v[56:57], v[148:149], v[56:57]
	v_fma_f64 v[158:159], v[100:101], s[4:5], -v[156:157]
	v_fma_f64 v[148:149], v[100:101], s[4:5], v[156:157]
	v_add_f64 v[52:53], v[158:159], v[52:53]
	v_mul_f64 v[158:159], v[108:109], s[44:45]
	v_add_f64 v[58:59], v[148:149], v[58:59]
	v_fma_f64 v[160:161], v[64:65], s[4:5], v[158:159]
	v_fma_f64 v[148:149], v[64:65], s[4:5], -v[158:159]
	v_add_f64 v[54:55], v[160:161], v[54:55]
	v_mul_f64 v[160:161], v[116:117], s[42:43]
	v_add_f64 v[148:149], v[148:149], v[56:57]
	v_fma_f64 v[162:163], v[104:105], s[16:17], -v[160:161]
	v_fma_f64 v[56:57], v[104:105], s[16:17], v[160:161]
	v_add_f64 v[52:53], v[162:163], v[52:53]
	v_mul_f64 v[162:163], v[114:115], s[42:43]
	v_add_f64 v[56:57], v[56:57], v[58:59]
	v_fma_f64 v[150:151], v[106:107], s[16:17], -v[162:163]
	v_fma_f64 v[169:170], v[106:107], s[16:17], v[162:163]
	v_add_f64 v[58:59], v[150:151], v[148:149]
	v_mul_f64 v[148:149], v[128:129], s[34:35]
	v_add_f64 v[54:55], v[169:170], v[54:55]
	v_mul_f64 v[168:169], v[114:115], s[18:19]
	v_mul_f64 v[128:129], v[128:129], s[36:37]
	v_fma_f64 v[150:151], v[118:119], s[0:1], -v[148:149]
	v_fma_f64 v[148:149], v[118:119], s[0:1], v[148:149]
	v_add_f64 v[144:145], v[150:151], v[144:145]
	v_mul_f64 v[150:151], v[126:127], s[34:35]
	v_add_f64 v[140:141], v[148:149], v[140:141]
	v_mul_f64 v[126:127], v[126:127], s[36:37]
	v_fma_f64 v[152:153], v[70:71], s[0:1], v[150:151]
	v_fma_f64 v[148:149], v[70:71], s[0:1], -v[150:151]
	v_fma_f64 v[150:151], v[106:107], s[20:21], -v[168:169]
	v_add_f64 v[142:143], v[152:153], v[142:143]
	v_mul_f64 v[152:153], v[124:125], s[26:27]
	v_add_f64 v[138:139], v[148:149], v[138:139]
	v_mul_f64 v[124:125], v[124:125], s[22:23]
	v_fma_f64 v[154:155], v[62:63], s[16:17], -v[152:153]
	v_fma_f64 v[148:149], v[62:63], s[16:17], v[152:153]
	v_add_f64 v[144:145], v[154:155], v[144:145]
	v_mul_f64 v[154:155], v[122:123], s[26:27]
	v_add_f64 v[140:141], v[148:149], v[140:141]
	v_mul_f64 v[122:123], v[122:123], s[22:23]
	v_fma_f64 v[156:157], v[60:61], s[16:17], v[154:155]
	v_fma_f64 v[148:149], v[60:61], s[16:17], -v[154:155]
	v_add_f64 v[154:155], v[80:81], -v[4:5]
	v_add_f64 v[142:143], v[156:157], v[142:143]
	v_mul_f64 v[156:157], v[120:121], s[44:45]
	v_add_f64 v[138:139], v[148:149], v[138:139]
	v_mul_f64 v[120:121], v[120:121], s[42:43]
	v_mul_f64 v[188:189], v[154:155], s[18:19]
	;; [unrolled: 1-line block ×5, first 2 shown]
	v_fma_f64 v[158:159], v[102:103], s[4:5], -v[156:157]
	v_fma_f64 v[148:149], v[102:103], s[4:5], v[156:157]
	v_add_f64 v[144:145], v[158:159], v[144:145]
	v_mul_f64 v[158:159], v[68:69], s[44:45]
	v_add_f64 v[140:141], v[148:149], v[140:141]
	v_mul_f64 v[68:69], v[68:69], s[42:43]
	v_fma_f64 v[160:161], v[66:67], s[4:5], v[158:159]
	v_fma_f64 v[148:149], v[66:67], s[4:5], -v[158:159]
	v_add_f64 v[158:159], v[84:85], -v[12:13]
	v_add_f64 v[142:143], v[160:161], v[142:143]
	v_mul_f64 v[160:161], v[110:111], s[36:37]
	v_add_f64 v[138:139], v[148:149], v[138:139]
	v_mul_f64 v[110:111], v[110:111], s[18:19]
	v_mul_f64 v[178:179], v[158:159], s[30:31]
	;; [unrolled: 1-line block ×5, first 2 shown]
	v_fma_f64 v[162:163], v[100:101], s[12:13], -v[160:161]
	v_fma_f64 v[148:149], v[100:101], s[12:13], v[160:161]
	v_add_f64 v[144:145], v[162:163], v[144:145]
	v_mul_f64 v[162:163], v[108:109], s[36:37]
	v_add_f64 v[140:141], v[148:149], v[140:141]
	v_mul_f64 v[108:109], v[108:109], s[18:19]
	v_fma_f64 v[148:149], v[64:65], s[12:13], -v[162:163]
	v_fma_f64 v[164:165], v[64:65], s[12:13], v[162:163]
	v_add_f64 v[138:139], v[148:149], v[138:139]
	v_add_f64 v[164:165], v[164:165], v[142:143]
	v_fma_f64 v[142:143], v[104:105], s[20:21], -v[166:167]
	v_fma_f64 v[148:149], v[104:105], s[20:21], v[166:167]
	v_add_f64 v[166:167], v[76:77], v[0:1]
	v_add_f64 v[150:151], v[150:151], v[138:139]
	v_fma_f64 v[138:139], v[118:119], s[12:13], -v[128:129]
	v_fma_f64 v[118:119], v[118:119], s[12:13], v[128:129]
	v_fma_f64 v[128:129], v[66:67], s[16:17], v[68:69]
	v_fma_f64 v[66:67], v[66:67], s[16:17], -v[68:69]
	v_mul_f64 v[68:69], v[116:117], s[34:35]
	v_add_f64 v[142:143], v[142:143], v[144:145]
	v_fma_f64 v[144:145], v[106:107], s[20:21], v[168:169]
	v_add_f64 v[168:169], v[78:79], -v[2:3]
	v_add_f64 v[148:149], v[148:149], v[140:141]
	v_add_f64 v[140:141], v[86:87], v[14:15]
	;; [unrolled: 1-line block ×3, first 2 shown]
	v_fma_f64 v[138:139], v[70:71], s[12:13], v[126:127]
	v_fma_f64 v[70:71], v[70:71], s[12:13], -v[126:127]
	v_add_f64 v[118:119], v[118:119], v[146:147]
	v_add_f64 v[146:147], v[82:83], v[6:7]
	v_add_f64 v[144:145], v[144:145], v[164:165]
	v_mul_f64 v[170:171], v[168:169], s[28:29]
	v_add_f64 v[164:165], v[92:93], -v[16:17]
	v_mul_f64 v[220:221], v[168:169], s[26:27]
	v_mul_f64 v[238:239], v[168:169], s[24:25]
	;; [unrolled: 1-line block ×4, first 2 shown]
	v_add_f64 v[133:134], v[138:139], v[134:135]
	v_fma_f64 v[138:139], v[62:63], s[14:15], -v[124:125]
	v_add_f64 v[70:71], v[70:71], v[130:131]
	v_fma_f64 v[62:63], v[62:63], s[14:15], v[124:125]
	v_fma_f64 v[124:125], v[100:101], s[20:21], -v[110:111]
	v_fma_f64 v[100:101], v[100:101], s[20:21], v[110:111]
	v_add_f64 v[130:131], v[84:85], v[12:13]
	v_mul_f64 v[116:117], v[164:165], s[38:39]
	v_mul_f64 v[196:197], v[164:165], s[36:37]
	v_fma_f64 v[156:157], v[146:147], s[14:15], -v[230:231]
	v_mul_f64 v[216:217], v[164:165], s[24:25]
	v_mul_f64 v[236:237], v[164:165], s[44:45]
	v_add_f64 v[135:136], v[138:139], v[136:137]
	v_fma_f64 v[137:138], v[60:61], s[14:15], v[122:123]
	v_fma_f64 v[60:61], v[60:61], s[14:15], -v[122:123]
	v_add_f64 v[62:63], v[62:63], v[118:119]
	v_add_f64 v[122:123], v[82:83], -v[6:7]
	v_fma_f64 v[118:119], v[64:65], s[20:21], v[108:109]
	v_fma_f64 v[64:65], v[64:65], s[20:21], -v[108:109]
	v_add_f64 v[133:134], v[137:138], v[133:134]
	v_fma_f64 v[137:138], v[102:103], s[16:17], -v[120:121]
	v_add_f64 v[60:61], v[60:61], v[70:71]
	v_fma_f64 v[102:103], v[102:103], s[16:17], v[120:121]
	v_mul_f64 v[70:71], v[114:115], s[34:35]
	v_add_f64 v[114:115], v[92:93], v[16:17]
	v_mul_f64 v[180:181], v[122:123], s[18:19]
	v_fma_f64 v[120:121], v[146:147], s[20:21], -v[188:189]
	v_mul_f64 v[206:207], v[122:123], s[30:31]
	v_mul_f64 v[218:219], v[122:123], s[38:39]
	;; [unrolled: 1-line block ×3, first 2 shown]
	v_add_f64 v[128:129], v[128:129], v[133:134]
	v_add_f64 v[135:136], v[137:138], v[135:136]
	;; [unrolled: 1-line block ×3, first 2 shown]
	v_fma_f64 v[66:67], v[104:105], s[0:1], -v[68:69]
	v_add_f64 v[62:63], v[102:103], v[62:63]
	v_fma_f64 v[102:103], v[106:107], s[0:1], v[70:71]
	v_add_f64 v[118:119], v[118:119], v[128:129]
	v_add_f64 v[124:125], v[124:125], v[135:136]
	;; [unrolled: 1-line block ×3, first 2 shown]
	v_fma_f64 v[64:65], v[104:105], s[0:1], v[68:69]
	v_add_f64 v[62:63], v[100:101], v[62:63]
	v_fma_f64 v[68:69], v[166:167], s[12:13], v[170:171]
	v_add_f64 v[128:129], v[80:81], v[4:5]
	v_add_f64 v[134:135], v[86:87], -v[14:15]
	v_add_f64 v[104:105], v[98:99], v[22:23]
	v_add_f64 v[138:139], v[102:103], v[118:119]
	;; [unrolled: 1-line block ×3, first 2 shown]
	v_fma_f64 v[66:67], v[106:107], s[0:1], -v[70:71]
	v_mul_f64 v[70:71], v[122:123], s[26:27]
	buffer_store_dword v70, off, s[48:51], 0 offset:540 ; 4-byte Folded Spill
	buffer_store_dword v71, off, s[48:51], 0 offset:544 ; 4-byte Folded Spill
	v_add_f64 v[106:107], v[64:65], v[62:63]
	v_add_f64 v[108:109], v[66:67], v[60:61]
	;; [unrolled: 1-line block ×3, first 2 shown]
	v_mul_f64 v[64:65], v[154:155], s[26:27]
	v_add_f64 v[118:119], v[94:95], -v[18:19]
	v_add_f64 v[124:125], v[94:95], v[18:19]
	v_add_f64 v[102:103], v[98:99], -v[22:23]
	v_add_f64 v[68:69], v[96:97], v[20:21]
	v_mul_f64 v[172:173], v[134:135], s[30:31]
	v_mul_f64 v[202:203], v[134:135], s[40:41]
	;; [unrolled: 1-line block ×4, first 2 shown]
	v_fma_f64 v[66:67], v[146:147], s[16:17], -v[64:65]
	v_mul_f64 v[126:127], v[118:119], s[38:39]
	v_mul_f64 v[234:235], v[118:119], s[44:45]
	;; [unrolled: 1-line block ×4, first 2 shown]
	v_fma_f64 v[62:63], v[128:129], s[16:17], v[70:71]
	v_mul_f64 v[70:71], v[158:159], s[24:25]
	v_add_f64 v[60:61], v[62:63], v[60:61]
	v_fma_f64 v[62:63], v[184:185], s[12:13], -v[186:187]
	v_add_f64 v[62:63], v[10:11], v[62:63]
	v_add_f64 v[62:63], v[66:67], v[62:63]
	v_mul_f64 v[66:67], v[134:135], s[24:25]
	buffer_store_dword v66, off, s[48:51], 0 offset:524 ; 4-byte Folded Spill
	buffer_store_dword v67, off, s[48:51], 0 offset:528 ; 4-byte Folded Spill
	v_fma_f64 v[66:67], v[130:131], s[0:1], v[66:67]
	v_add_f64 v[60:61], v[66:67], v[60:61]
	v_fma_f64 v[66:67], v[140:141], s[0:1], -v[70:71]
	v_add_f64 v[62:63], v[66:67], v[62:63]
	v_mul_f64 v[66:67], v[118:119], s[18:19]
	buffer_store_dword v66, off, s[48:51], 0 offset:476 ; 4-byte Folded Spill
	buffer_store_dword v67, off, s[48:51], 0 offset:480 ; 4-byte Folded Spill
	v_fma_f64 v[66:67], v[114:115], s[20:21], v[66:67]
	v_add_f64 v[60:61], v[66:67], v[60:61]
	v_mul_f64 v[66:67], v[164:165], s[18:19]
	buffer_store_dword v66, off, s[48:51], 0 offset:508 ; 4-byte Folded Spill
	buffer_store_dword v67, off, s[48:51], 0 offset:512 ; 4-byte Folded Spill
	v_fma_f64 v[66:67], v[124:125], s[20:21], -v[66:67]
	v_add_f64 v[62:63], v[66:67], v[62:63]
	v_mul_f64 v[66:67], v[102:103], s[22:23]
	buffer_store_dword v66, off, s[48:51], 0 offset:412 ; 4-byte Folded Spill
	buffer_store_dword v67, off, s[48:51], 0 offset:416 ; 4-byte Folded Spill
	v_fma_f64 v[66:67], v[68:69], s[14:15], v[66:67]
	v_add_f64 v[60:61], v[66:67], v[60:61]
	v_mul_f64 v[66:67], v[174:175], s[22:23]
	buffer_store_dword v66, off, s[48:51], 0 offset:428 ; 4-byte Folded Spill
	buffer_store_dword v67, off, s[48:51], 0 offset:432 ; 4-byte Folded Spill
	v_fma_f64 v[66:67], v[104:105], s[14:15], -v[66:67]
	v_add_f64 v[110:111], v[66:67], v[62:63]
	v_add_f64 v[66:67], v[90:91], -v[74:75]
	v_add_f64 v[62:63], v[88:89], v[72:73]
	v_mul_f64 v[100:101], v[66:67], s[30:31]
	buffer_store_dword v100, off, s[48:51], 0 offset:380 ; 4-byte Folded Spill
	buffer_store_dword v101, off, s[48:51], 0 offset:384 ; 4-byte Folded Spill
	v_fma_f64 v[100:101], v[62:63], s[4:5], v[100:101]
	v_add_f64 v[160:161], v[100:101], v[60:61]
	v_mul_f64 v[60:61], v[190:191], s[30:31]
	buffer_store_dword v60, off, s[48:51], 0 offset:396 ; 4-byte Folded Spill
	buffer_store_dword v61, off, s[48:51], 0 offset:400 ; 4-byte Folded Spill
	v_add_f64 v[100:101], v[90:91], v[74:75]
	v_fma_f64 v[60:61], v[100:101], s[4:5], -v[60:61]
	v_add_f64 v[162:163], v[60:61], v[110:111]
	buffer_store_dword v160, off, s[48:51], 0 offset:4 ; 4-byte Folded Spill
	buffer_store_dword v161, off, s[48:51], 0 offset:8 ; 4-byte Folded Spill
	;; [unrolled: 1-line block ×6, first 2 shown]
	v_fma_f64 v[60:61], v[166:167], s[16:17], v[220:221]
	v_fma_f64 v[110:111], v[128:129], s[20:21], v[180:181]
	v_add_f64 v[60:61], v[8:9], v[60:61]
	v_add_f64 v[60:61], v[110:111], v[60:61]
	v_fma_f64 v[110:111], v[184:185], s[16:17], -v[224:225]
	v_add_f64 v[110:111], v[10:11], v[110:111]
	v_add_f64 v[110:111], v[120:121], v[110:111]
	v_fma_f64 v[120:121], v[130:131], s[4:5], v[172:173]
	v_add_f64 v[60:61], v[120:121], v[60:61]
	v_fma_f64 v[120:121], v[140:141], s[4:5], -v[178:179]
	v_add_f64 v[110:111], v[120:121], v[110:111]
	v_fma_f64 v[120:121], v[114:115], s[14:15], v[126:127]
	v_add_f64 v[60:61], v[120:121], v[60:61]
	v_fma_f64 v[120:121], v[124:125], s[14:15], -v[116:117]
	v_mul_f64 v[116:117], v[66:67], s[36:37]
	v_add_f64 v[120:121], v[120:121], v[110:111]
	v_mul_f64 v[110:111], v[102:103], s[34:35]
	buffer_store_dword v110, off, s[48:51], 0 offset:572 ; 4-byte Folded Spill
	buffer_store_dword v111, off, s[48:51], 0 offset:576 ; 4-byte Folded Spill
	;; [unrolled: 1-line block ×4, first 2 shown]
	v_fma_f64 v[110:111], v[68:69], s[0:1], v[110:111]
	v_add_f64 v[60:61], v[110:111], v[60:61]
	v_mul_f64 v[110:111], v[174:175], s[34:35]
	v_fma_f64 v[152:153], v[104:105], s[0:1], -v[110:111]
	v_add_f64 v[120:121], v[152:153], v[120:121]
	v_fma_f64 v[152:153], v[62:63], s[12:13], v[116:117]
	v_mul_f64 v[116:117], v[66:67], s[22:23]
	v_add_f64 v[192:193], v[152:153], v[60:61]
	v_mul_f64 v[60:61], v[190:191], s[36:37]
	buffer_store_dword v60, off, s[48:51], 0 offset:460 ; 4-byte Folded Spill
	buffer_store_dword v61, off, s[48:51], 0 offset:464 ; 4-byte Folded Spill
	v_fma_f64 v[152:153], v[146:147], s[4:5], -v[210:211]
	v_fma_f64 v[60:61], v[100:101], s[12:13], -v[60:61]
	v_add_f64 v[194:195], v[60:61], v[120:121]
	buffer_store_dword v192, off, s[48:51], 0 offset:20 ; 4-byte Folded Spill
	buffer_store_dword v193, off, s[48:51], 0 offset:24 ; 4-byte Folded Spill
	;; [unrolled: 1-line block ×6, first 2 shown]
	v_fma_f64 v[60:61], v[166:167], s[0:1], v[238:239]
	v_fma_f64 v[120:121], v[128:129], s[4:5], v[206:207]
	v_mul_f64 v[194:195], v[118:119], s[36:37]
	v_add_f64 v[60:61], v[8:9], v[60:61]
	v_add_f64 v[60:61], v[120:121], v[60:61]
	v_fma_f64 v[120:121], v[184:185], s[0:1], -v[240:241]
	v_add_f64 v[120:121], v[10:11], v[120:121]
	v_add_f64 v[120:121], v[152:153], v[120:121]
	v_fma_f64 v[152:153], v[130:131], s[20:21], v[202:203]
	v_add_f64 v[60:61], v[152:153], v[60:61]
	v_fma_f64 v[152:153], v[140:141], s[20:21], -v[204:205]
	v_add_f64 v[120:121], v[152:153], v[120:121]
	v_fma_f64 v[152:153], v[114:115], s[12:13], v[194:195]
	v_add_f64 v[60:61], v[152:153], v[60:61]
	v_fma_f64 v[152:153], v[124:125], s[12:13], -v[196:197]
	;; [unrolled: 4-line block ×3, first 2 shown]
	v_add_f64 v[152:153], v[152:153], v[120:121]
	v_fma_f64 v[120:121], v[62:63], s[14:15], v[116:117]
	v_add_f64 v[212:213], v[120:121], v[60:61]
	v_mul_f64 v[60:61], v[190:191], s[22:23]
	buffer_store_dword v60, off, s[48:51], 0 offset:556 ; 4-byte Folded Spill
	buffer_store_dword v61, off, s[48:51], 0 offset:560 ; 4-byte Folded Spill
	v_fma_f64 v[60:61], v[100:101], s[14:15], -v[60:61]
	v_add_f64 v[214:215], v[60:61], v[152:153]
	v_fma_f64 v[60:61], v[166:167], s[20:21], v[250:251]
	v_fma_f64 v[152:153], v[128:129], s[14:15], v[218:219]
	buffer_store_dword v212, off, s[48:51], 0 offset:36 ; 4-byte Folded Spill
	buffer_store_dword v213, off, s[48:51], 0 offset:40 ; 4-byte Folded Spill
	;; [unrolled: 1-line block ×4, first 2 shown]
	v_add_f64 v[60:61], v[8:9], v[60:61]
	v_mul_f64 v[214:215], v[118:119], s[24:25]
	v_mul_f64 v[212:213], v[174:175], s[44:45]
	v_add_f64 v[60:61], v[152:153], v[60:61]
	v_fma_f64 v[152:153], v[184:185], s[20:21], -v[252:253]
	v_add_f64 v[152:153], v[10:11], v[152:153]
	v_add_f64 v[152:153], v[156:157], v[152:153]
	v_fma_f64 v[156:157], v[130:131], s[12:13], v[222:223]
	v_add_f64 v[60:61], v[156:157], v[60:61]
	v_fma_f64 v[156:157], v[140:141], s[12:13], -v[232:233]
	v_add_f64 v[152:153], v[156:157], v[152:153]
	v_fma_f64 v[156:157], v[114:115], s[0:1], v[214:215]
	v_add_f64 v[60:61], v[156:157], v[60:61]
	v_fma_f64 v[156:157], v[124:125], s[0:1], -v[216:217]
	;; [unrolled: 4-line block ×3, first 2 shown]
	v_add_f64 v[192:193], v[156:157], v[152:153]
	v_mul_f64 v[152:153], v[66:67], s[42:43]
	v_fma_f64 v[156:157], v[62:63], s[16:17], v[152:153]
	v_add_f64 v[226:227], v[156:157], v[60:61]
	v_mul_f64 v[156:157], v[190:191], s[42:43]
	v_fma_f64 v[60:61], v[100:101], s[16:17], -v[156:157]
	v_add_f64 v[228:229], v[60:61], v[192:193]
	v_fma_f64 v[60:61], v[166:167], s[14:15], v[254:255]
	v_fma_f64 v[192:193], v[128:129], s[0:1], v[242:243]
	buffer_store_dword v226, off, s[48:51], 0 offset:52 ; 4-byte Folded Spill
	buffer_store_dword v227, off, s[48:51], 0 offset:56 ; 4-byte Folded Spill
	buffer_store_dword v228, off, s[48:51], 0 offset:60 ; 4-byte Folded Spill
	buffer_store_dword v229, off, s[48:51], 0 offset:64 ; 4-byte Folded Spill
	v_add_f64 v[60:61], v[8:9], v[60:61]
	v_fma_f64 v[226:227], v[146:147], s[0:1], -v[246:247]
	v_add_f64 v[192:193], v[192:193], v[60:61]
	v_mul_f64 v[60:61], v[198:199], s[22:23]
	v_fma_f64 v[200:201], v[184:185], s[14:15], -v[60:61]
	v_add_f64 v[200:201], v[10:11], v[200:201]
	v_add_f64 v[200:201], v[226:227], v[200:201]
	v_fma_f64 v[226:227], v[130:131], s[16:17], v[244:245]
	v_add_f64 v[192:193], v[226:227], v[192:193]
	v_fma_f64 v[226:227], v[140:141], s[16:17], -v[248:249]
	v_add_f64 v[200:201], v[226:227], v[200:201]
	v_fma_f64 v[226:227], v[114:115], s[4:5], v[234:235]
	v_add_f64 v[192:193], v[226:227], v[192:193]
	v_fma_f64 v[226:227], v[124:125], s[4:5], -v[236:237]
	v_add_f64 v[200:201], v[226:227], v[200:201]
	v_mul_f64 v[226:227], v[102:103], s[36:37]
	v_fma_f64 v[228:229], v[68:69], s[12:13], v[226:227]
	v_add_f64 v[116:117], v[228:229], v[192:193]
	v_mul_f64 v[228:229], v[174:175], s[36:37]
	v_fma_f64 v[192:193], v[104:105], s[12:13], -v[228:229]
	v_add_f64 v[120:121], v[192:193], v[200:201]
	v_mul_f64 v[192:193], v[66:67], s[18:19]
	v_fma_f64 v[200:201], v[62:63], s[20:21], v[192:193]
	v_add_f64 v[160:161], v[200:201], v[116:117]
	v_mul_f64 v[200:201], v[190:191], s[18:19]
	v_fma_f64 v[116:117], v[100:101], s[20:21], -v[200:201]
	v_add_f64 v[162:163], v[116:117], v[120:121]
	buffer_store_dword v160, off, s[48:51], 0 offset:68 ; 4-byte Folded Spill
	buffer_store_dword v161, off, s[48:51], 0 offset:72 ; 4-byte Folded Spill
	;; [unrolled: 1-line block ×4, first 2 shown]
	buffer_load_dword v117, off, s[48:51], 0 ; 4-byte Folded Reload
	v_mov_b32_e32 v120, 4
	s_waitcnt vmcnt(0)
	s_waitcnt_vscnt null, 0x0
	s_barrier
	buffer_gl0_inv
	v_mul_lo_u16 v116, v117, 13
	v_lshlrev_b32_sdwa v133, v120, v116 dst_sel:DWORD dst_unused:UNUSED_PAD src0_sel:DWORD src1_sel:WORD_0
	ds_write_b128 v133, v[28:31]
	ds_write_b128 v133, v[32:35] offset:16
	ds_write_b128 v133, v[40:43] offset:32
	;; [unrolled: 1-line block ×12, first 2 shown]
	v_add_co_u32 v24, s33, 0x5b, v117
	v_add_co_ci_u32_e64 v25, null, 0, 0, s33
	v_mul_u32_u24_e32 v25, 13, v24
	buffer_store_dword v25, off, s[48:51], 0 offset:788 ; 4-byte Folded Spill
	s_and_saveexec_b32 s33, vcc_lo
	s_cbranch_execz .LBB0_7
; %bb.6:
	v_add_f64 v[27:28], v[8:9], v[76:77]
	v_mul_f64 v[148:149], v[124:125], s[14:15]
	v_add_f64 v[25:26], v[10:11], v[78:79]
	v_mul_f64 v[29:30], v[184:185], s[20:21]
	v_mul_f64 v[33:34], v[184:185], s[0:1]
	;; [unrolled: 1-line block ×19, first 2 shown]
	v_add_f64 v[27:28], v[27:28], v[80:81]
	v_mul_f64 v[80:81], v[128:129], s[0:1]
	v_add_f64 v[25:26], v[25:26], v[82:83]
	v_add_f64 v[29:30], v[252:253], v[29:30]
	;; [unrolled: 1-line block ×5, first 2 shown]
	v_add_f64 v[31:32], v[31:32], -v[250:251]
	v_add_f64 v[35:36], v[35:36], -v[238:239]
	;; [unrolled: 1-line block ×3, first 2 shown]
	v_fma_f64 v[45:46], v[166:167], s[4:5], v[43:44]
	v_fma_f64 v[43:44], v[166:167], s[4:5], -v[43:44]
	v_add_f64 v[47:48], v[47:48], -v[170:171]
	v_mul_f64 v[82:83], v[140:141], s[12:13]
	v_mul_f64 v[66:67], v[66:67], s[34:35]
	v_fma_f64 v[51:52], v[164:165], s[26:27], v[49:50]
	v_fma_f64 v[49:50], v[164:165], s[42:43], v[49:50]
	v_mul_f64 v[160:161], v[68:69], s[12:13]
	v_mul_f64 v[164:165], v[68:69], s[4:5]
	v_fma_f64 v[55:56], v[174:175], s[40:41], v[53:54]
	v_add_f64 v[57:58], v[246:247], v[57:58]
	v_add_f64 v[78:79], v[230:231], v[78:79]
	;; [unrolled: 1-line block ×3, first 2 shown]
	v_mul_f64 v[84:85], v[146:147], s[4:5]
	v_add_f64 v[25:26], v[25:26], v[86:87]
	v_add_f64 v[29:30], v[10:11], v[29:30]
	;; [unrolled: 1-line block ×4, first 2 shown]
	v_fma_f64 v[53:54], v[174:175], s[18:19], v[53:54]
	v_add_f64 v[31:32], v[8:9], v[31:32]
	v_add_f64 v[35:36], v[8:9], v[35:36]
	v_add_f64 v[39:40], v[8:9], v[39:40]
	v_add_f64 v[45:46], v[8:9], v[45:46]
	v_add_f64 v[43:44], v[8:9], v[43:44]
	v_mul_f64 v[86:87], v[146:147], s[20:21]
	v_add_f64 v[82:83], v[232:233], v[82:83]
	v_add_f64 v[80:81], v[80:81], -v[242:243]
	v_add_f64 v[120:121], v[178:179], v[120:121]
	v_add_f64 v[76:77], v[76:77], -v[244:245]
	v_mul_f64 v[118:119], v[118:119], s[42:43]
	v_add_f64 v[108:109], v[204:205], v[108:109]
	v_mul_f64 v[138:139], v[114:115], s[4:5]
	v_mul_f64 v[142:143], v[114:115], s[0:1]
	v_add_f64 v[116:117], v[116:117], -v[202:203]
	v_add_f64 v[27:28], v[27:28], v[92:93]
	s_clause 0x5
	buffer_load_dword v92, off, s[48:51], 0 offset:540
	buffer_load_dword v93, off, s[48:51], 0 offset:544
	;; [unrolled: 1-line block ×6, first 2 shown]
	v_add_f64 v[25:26], v[25:26], v[94:95]
	v_mul_f64 v[94:95], v[122:123], s[36:37]
	v_mul_f64 v[122:123], v[130:131], s[4:5]
	v_add_f64 v[84:85], v[210:211], v[84:85]
	v_add_f64 v[29:30], v[78:79], v[29:30]
	v_mul_f64 v[78:79], v[62:63], s[12:13]
	v_add_f64 v[106:107], v[106:107], -v[222:223]
	v_add_f64 v[144:145], v[196:197], v[144:145]
	v_add_f64 v[86:87], v[188:189], v[86:87]
	v_mul_f64 v[162:163], v[104:105], s[4:5]
	v_add_f64 v[164:165], v[164:165], -v[208:209]
	v_add_f64 v[160:161], v[160:161], -v[226:227]
	;; [unrolled: 1-line block ×4, first 2 shown]
	v_add_f64 v[27:28], v[27:28], v[96:97]
	v_add_f64 v[25:26], v[25:26], v[98:99]
	v_fma_f64 v[96:97], v[128:129], s[12:13], v[94:95]
	v_fma_f64 v[94:95], v[128:129], s[12:13], -v[94:95]
	v_mul_f64 v[98:99], v[128:129], s[14:15]
	v_add_f64 v[33:34], v[84:85], v[33:34]
	v_add_f64 v[29:30], v[82:83], v[29:30]
	v_mul_f64 v[82:83], v[62:63], s[4:5]
	v_add_f64 v[122:123], v[122:123], -v[172:173]
	v_add_f64 v[37:38], v[86:87], v[37:38]
	v_add_f64 v[162:163], v[212:213], v[162:163]
	;; [unrolled: 1-line block ×3, first 2 shown]
	v_mul_f64 v[88:89], v[146:147], s[16:17]
	v_add_f64 v[25:26], v[25:26], v[90:91]
	v_mul_f64 v[90:91], v[128:129], s[16:17]
	v_add_f64 v[43:44], v[94:95], v[43:44]
	v_add_f64 v[98:99], v[98:99], -v[218:219]
	v_add_f64 v[33:34], v[108:109], v[33:34]
	v_add_f64 v[37:38], v[120:121], v[37:38]
	;; [unrolled: 1-line block ×4, first 2 shown]
	v_mul_f64 v[88:89], v[128:129], s[4:5]
	v_add_f64 v[25:26], v[25:26], v[74:75]
	v_mul_f64 v[74:75], v[140:141], s[16:17]
	v_add_f64 v[31:32], v[98:99], v[31:32]
	v_add_f64 v[33:34], v[144:145], v[33:34]
	;; [unrolled: 1-line block ×3, first 2 shown]
	v_mul_f64 v[27:28], v[166:167], s[14:15]
	v_add_f64 v[88:89], v[88:89], -v[206:207]
	v_mul_f64 v[166:167], v[104:105], s[16:17]
	v_add_f64 v[22:23], v[25:26], v[22:23]
	v_mul_f64 v[25:26], v[184:185], s[14:15]
	v_add_f64 v[74:75], v[248:249], v[74:75]
	v_add_f64 v[31:32], v[106:107], v[31:32]
	;; [unrolled: 1-line block ×3, first 2 shown]
	v_mul_f64 v[20:21], v[184:185], s[4:5]
	v_add_f64 v[27:28], v[27:28], -v[254:255]
	v_add_f64 v[35:36], v[88:89], v[35:36]
	v_add_f64 v[18:19], v[22:23], v[18:19]
	;; [unrolled: 1-line block ×4, first 2 shown]
	v_mul_f64 v[59:60], v[100:101], s[0:1]
	v_add_f64 v[31:32], v[142:143], v[31:32]
	v_add_f64 v[12:13], v[16:17], v[12:13]
	v_fma_f64 v[22:23], v[198:199], s[44:45], v[20:21]
	v_fma_f64 v[20:21], v[198:199], s[30:31], v[20:21]
	v_mul_f64 v[16:17], v[146:147], s[12:13]
	v_add_f64 v[14:15], v[18:19], v[14:15]
	v_add_f64 v[25:26], v[10:11], v[25:26]
	;; [unrolled: 1-line block ×4, first 2 shown]
	v_mul_f64 v[146:147], v[114:115], s[12:13]
	v_add_f64 v[35:36], v[116:117], v[35:36]
	v_add_f64 v[33:34], v[166:167], v[33:34]
	v_fma_f64 v[72:73], v[190:191], s[24:25], v[59:60]
	v_fma_f64 v[59:60], v[190:191], s[34:35], v[59:60]
	v_add_f64 v[22:23], v[10:11], v[22:23]
	v_add_f64 v[20:21], v[10:11], v[20:21]
	;; [unrolled: 1-line block ×3, first 2 shown]
	v_fma_f64 v[18:19], v[154:155], s[28:29], v[16:17]
	v_fma_f64 v[16:17], v[154:155], s[36:37], v[16:17]
	v_mul_f64 v[41:42], v[140:141], s[14:15]
	v_add_f64 v[25:26], v[57:58], v[25:26]
	v_mul_f64 v[57:58], v[62:63], s[20:21]
	v_add_f64 v[27:28], v[80:81], v[27:28]
	v_fma_f64 v[154:155], v[114:115], s[16:17], v[118:119]
	v_fma_f64 v[118:119], v[114:115], s[16:17], -v[118:119]
	v_add_f64 v[146:147], v[146:147], -v[194:195]
	v_mul_f64 v[80:81], v[100:101], s[4:5]
	v_add_f64 v[6:7], v[14:15], v[6:7]
	v_add_f64 v[14:15], v[12:13], v[4:5]
	;; [unrolled: 1-line block ×5, first 2 shown]
	v_fma_f64 v[47:48], v[158:159], s[38:39], v[41:42]
	v_fma_f64 v[41:42], v[158:159], s[22:23], v[41:42]
	v_add_f64 v[22:23], v[96:97], v[45:46]
	v_mul_f64 v[45:46], v[68:69], s[0:1]
	v_mul_f64 v[20:21], v[68:69], s[16:17]
	v_add_f64 v[25:26], v[74:75], v[25:26]
	v_mul_f64 v[74:75], v[62:63], s[14:15]
	v_add_f64 v[27:28], v[76:77], v[27:28]
	v_mul_f64 v[76:77], v[100:101], s[12:13]
	v_mul_f64 v[158:159], v[104:105], s[12:13]
	;; [unrolled: 1-line block ×3, first 2 shown]
	v_add_f64 v[35:36], v[146:147], v[35:36]
	v_add_f64 v[57:58], v[57:58], -v[192:193]
	v_add_f64 v[18:19], v[47:48], v[18:19]
	v_add_f64 v[16:17], v[41:42], v[16:17]
	v_mul_f64 v[41:42], v[104:105], s[0:1]
	v_add_f64 v[20:21], v[20:21], -v[176:177]
	v_add_f64 v[27:28], v[138:139], v[27:28]
	v_add_f64 v[158:159], v[228:229], v[158:159]
	;; [unrolled: 1-line block ×8, first 2 shown]
	v_mul_f64 v[53:54], v[68:69], s[14:15]
	v_add_f64 v[4:5], v[72:73], v[18:19]
	s_waitcnt vmcnt(4)
	v_add_f64 v[90:91], v[90:91], -v[92:93]
	v_mul_f64 v[92:93], v[128:129], s[20:21]
	s_waitcnt vmcnt(0)
	v_add_f64 v[148:149], v[150:151], v[148:149]
	v_mul_f64 v[150:151], v[114:115], s[14:15]
	v_mul_f64 v[128:129], v[140:141], s[0:1]
	;; [unrolled: 1-line block ×4, first 2 shown]
	v_add_f64 v[8:9], v[90:91], v[8:9]
	v_add_f64 v[92:93], v[92:93], -v[180:181]
	v_add_f64 v[37:38], v[148:149], v[37:38]
	v_add_f64 v[150:151], v[150:151], -v[126:127]
	s_clause 0x1
	buffer_load_dword v126, off, s[48:51], 0 offset:508
	buffer_load_dword v127, off, s[48:51], 0 offset:512
	v_add_f64 v[70:71], v[70:71], v[128:129]
	v_mul_f64 v[128:129], v[134:135], s[22:23]
	v_add_f64 v[140:141], v[216:217], v[140:141]
	v_add_f64 v[39:40], v[92:93], v[39:40]
	;; [unrolled: 1-line block ×4, first 2 shown]
	v_fma_f64 v[134:135], v[130:131], s[14:15], v[128:129]
	v_fma_f64 v[128:129], v[130:131], s[14:15], -v[128:129]
	v_mul_f64 v[130:131], v[130:131], s[0:1]
	v_mul_f64 v[70:71], v[100:101], s[14:15]
	v_add_f64 v[29:30], v[140:141], v[29:30]
	v_add_f64 v[39:40], v[122:123], v[39:40]
	;; [unrolled: 1-line block ×4, first 2 shown]
	v_add_f64 v[130:131], v[130:131], -v[136:137]
	v_mul_f64 v[136:137], v[124:125], s[4:5]
	v_mul_f64 v[124:125], v[124:125], s[20:21]
	v_add_f64 v[29:30], v[162:163], v[29:30]
	v_add_f64 v[39:40], v[150:151], v[39:40]
	;; [unrolled: 1-line block ×8, first 2 shown]
	s_waitcnt vmcnt(0)
	v_add_f64 v[124:125], v[126:127], v[124:125]
	s_clause 0x9
	buffer_load_dword v126, off, s[48:51], 0 offset:476
	buffer_load_dword v127, off, s[48:51], 0 offset:480
	;; [unrolled: 1-line block ×10, first 2 shown]
	v_add_f64 v[10:11], v[124:125], v[10:11]
	s_waitcnt vmcnt(8)
	v_add_f64 v[114:115], v[114:115], -v[126:127]
	s_waitcnt vmcnt(6)
	v_add_f64 v[45:46], v[45:46], -v[47:48]
	v_mul_f64 v[47:48], v[104:105], s[14:15]
	s_waitcnt vmcnt(2)
	v_add_f64 v[53:54], v[53:54], -v[55:56]
	s_waitcnt vmcnt(0)
	v_add_f64 v[70:71], v[84:85], v[70:71]
	v_fma_f64 v[84:85], v[62:63], s[0:1], v[66:67]
	v_mul_f64 v[55:56], v[100:101], s[20:21]
	v_add_f64 v[8:9], v[114:115], v[8:9]
	v_add_f64 v[39:40], v[45:46], v[39:40]
	;; [unrolled: 1-line block ×3, first 2 shown]
	v_mul_f64 v[49:50], v[102:103], s[18:19]
	v_add_f64 v[45:46], v[20:21], v[35:36]
	v_add_f64 v[20:21], v[70:71], v[33:34]
	;; [unrolled: 1-line block ×5, first 2 shown]
	v_mul_u32_u24_e32 v0, 13, v24
	v_lshlrev_b32_e32 v0, 4, v0
	v_add_f64 v[53:54], v[53:54], v[8:9]
	v_add_f64 v[8:9], v[59:60], v[16:17]
	;; [unrolled: 1-line block ×3, first 2 shown]
	v_fma_f64 v[51:52], v[68:69], s[20:21], v[49:50]
	v_fma_f64 v[49:50], v[68:69], s[20:21], -v[49:50]
	v_mul_f64 v[68:69], v[62:63], s[16:17]
	v_fma_f64 v[61:62], v[62:63], s[0:1], -v[66:67]
	s_clause 0x1
	buffer_load_dword v66, off, s[48:51], 0 offset:492
	buffer_load_dword v67, off, s[48:51], 0 offset:496
	v_add_f64 v[16:17], v[64:65], v[29:30]
	v_add_f64 v[12:13], v[55:56], v[25:26]
	;; [unrolled: 1-line block ×4, first 2 shown]
	v_add_f64 v[68:69], v[68:69], -v[152:153]
	v_add_f64 v[2:3], v[84:85], v[22:23]
	v_add_f64 v[6:7], v[61:62], v[43:44]
	s_waitcnt vmcnt(0)
	v_add_f64 v[66:67], v[74:75], -v[66:67]
	s_clause 0x3
	buffer_load_dword v74, off, s[48:51], 0 offset:460
	buffer_load_dword v75, off, s[48:51], 0 offset:464
	;; [unrolled: 1-line block ×4, first 2 shown]
	v_add_f64 v[18:19], v[66:67], v[45:46]
	s_waitcnt vmcnt(2)
	v_add_f64 v[74:75], v[74:75], v[76:77]
	s_clause 0x3
	buffer_load_dword v76, off, s[48:51], 0 offset:396
	buffer_load_dword v77, off, s[48:51], 0 offset:400
	;; [unrolled: 1-line block ×4, first 2 shown]
	s_waitcnt vmcnt(4)
	v_add_f64 v[41:42], v[78:79], -v[41:42]
	v_add_f64 v[78:79], v[164:165], v[31:32]
	v_add_f64 v[25:26], v[41:42], v[39:40]
	;; [unrolled: 1-line block ×3, first 2 shown]
	s_waitcnt vmcnt(2)
	v_add_f64 v[76:77], v[76:77], v[80:81]
	s_waitcnt vmcnt(0)
	v_add_f64 v[47:48], v[82:83], -v[47:48]
	v_add_f64 v[80:81], v[160:161], v[27:28]
	v_add_f64 v[27:28], v[74:75], v[37:38]
	;; [unrolled: 1-line block ×5, first 2 shown]
	ds_write_b128 v0, v[33:36]
	ds_write_b128 v0, v[29:32] offset:16
	ds_write_b128 v0, v[25:28] offset:32
	;; [unrolled: 1-line block ×7, first 2 shown]
	s_clause 0x3
	buffer_load_dword v1, off, s[48:51], 0 offset:68
	buffer_load_dword v2, off, s[48:51], 0 offset:72
	buffer_load_dword v3, off, s[48:51], 0 offset:76
	buffer_load_dword v4, off, s[48:51], 0 offset:80
	s_waitcnt vmcnt(0)
	ds_write_b128 v0, v[1:4] offset:128
	s_clause 0x3
	buffer_load_dword v1, off, s[48:51], 0 offset:52
	buffer_load_dword v2, off, s[48:51], 0 offset:56
	buffer_load_dword v3, off, s[48:51], 0 offset:60
	buffer_load_dword v4, off, s[48:51], 0 offset:64
	s_waitcnt vmcnt(0)
	ds_write_b128 v0, v[1:4] offset:144
	;; [unrolled: 7-line block ×5, first 2 shown]
.LBB0_7:
	s_or_b32 exec_lo, exec_lo, s33
	buffer_load_dword v170, off, s[48:51], 0 ; 4-byte Folded Reload
	v_mov_b32_e32 v0, 0x4ec5
	v_mov_b32_e32 v171, 4
	s_waitcnt vmcnt(0) lgkmcnt(0)
	s_waitcnt_vscnt null, 0x0
	s_barrier
	buffer_gl0_inv
	v_mov_b32_e32 v151, 0x5b
	s_mov_b32 s0, 0xaaaaaaaa
	s_mov_b32 s1, 0xbff2aaaa
	s_mov_b32 s4, 0x36b3c0b5
	s_mov_b32 s18, 0xe976ee23
	s_mov_b32 s14, 0x429ad128
	s_mov_b32 s22, 0x37e14327
	s_mov_b32 s5, 0x3fac98ee
	s_mov_b32 s19, 0xbfe11646
	s_mov_b32 s15, 0x3febfeb5
	s_mov_b32 s23, 0x3fe948f6
	s_mov_b32 s16, 0x5476071b
	s_mov_b32 s20, 0xb247c609
	s_mov_b32 s17, 0x3fe77f67
	s_mov_b32 s25, 0xbfe77f67
	s_mov_b32 s21, 0x3fd5d0dc
	s_mov_b32 s27, 0xbfd5d0dc
	s_mov_b32 s26, s20
	s_mov_b32 s24, s16
	s_mov_b32 s12, 0x37c3f68c
	s_mov_b32 s13, 0x3fdc38aa
	v_add_co_u32 v25, null, 0xb6, v170
	v_and_b32_e32 v1, 0xff, v170
	v_mul_u32_u24_sdwa v0, v25, v0 dst_sel:DWORD dst_unused:UNUSED_PAD src0_sel:WORD_0 src1_sel:DWORD
	v_mul_lo_u16 v1, 0x4f, v1
	v_lshrrev_b32_e32 v26, 18, v0
	v_lshrrev_b16 v28, 10, v1
	v_mul_lo_u16 v0, v26, 13
	v_mul_lo_u16 v1, v28, 13
	v_mul_u32_u24_sdwa v28, v28, v151 dst_sel:DWORD dst_unused:UNUSED_PAD src0_sel:WORD_0 src1_sel:DWORD
	v_sub_nc_u16 v27, v25, v0
	v_sub_nc_u16 v1, v170, v1
	v_mul_lo_u16 v0, v27, 6
	v_and_b32_e32 v29, 0xff, v1
	v_lshlrev_b32_sdwa v0, v171, v0 dst_sel:DWORD dst_unused:UNUSED_PAD src0_sel:DWORD src1_sel:WORD_0
	v_mul_u32_u24_e32 v1, 6, v29
	v_add_lshl_u32 v152, v28, v29, 4
	s_clause 0x1
	global_load_dwordx4 v[91:94], v0, s[2:3]
	global_load_dwordx4 v[87:90], v0, s[2:3] offset:16
	v_lshlrev_b32_e32 v30, 4, v1
	s_clause 0x7
	global_load_dwordx4 v[83:86], v0, s[2:3] offset:32
	global_load_dwordx4 v[79:82], v0, s[2:3] offset:48
	;; [unrolled: 1-line block ×4, first 2 shown]
	global_load_dwordx4 v[118:121], v30, s[2:3]
	global_load_dwordx4 v[114:117], v30, s[2:3] offset:16
	global_load_dwordx4 v[107:110], v30, s[2:3] offset:32
	;; [unrolled: 1-line block ×3, first 2 shown]
	ds_read_b128 v[20:23], v132 offset:7280
	ds_read_b128 v[16:19], v132 offset:11648
	;; [unrolled: 1-line block ×13, first 2 shown]
	s_waitcnt vmcnt(9) lgkmcnt(12)
	v_mul_f64 v[59:60], v[22:23], v[93:94]
	v_mul_f64 v[61:62], v[20:21], v[93:94]
	s_waitcnt vmcnt(8) lgkmcnt(11)
	v_mul_f64 v[63:64], v[18:19], v[89:90]
	v_mul_f64 v[65:66], v[16:17], v[89:90]
	s_waitcnt vmcnt(7) lgkmcnt(10)
	v_mul_f64 v[67:68], v[14:15], v[85:86]
	s_waitcnt vmcnt(6) lgkmcnt(9)
	v_mul_f64 v[71:72], v[10:11], v[81:82]
	v_mul_f64 v[69:70], v[12:13], v[85:86]
	;; [unrolled: 1-line block ×3, first 2 shown]
	s_waitcnt vmcnt(5) lgkmcnt(8)
	v_mul_f64 v[75:76], v[6:7], v[101:102]
	v_mul_f64 v[77:78], v[4:5], v[101:102]
	v_fma_f64 v[20:21], v[20:21], v[91:92], -v[59:60]
	buffer_store_dword v91, off, s[48:51], 0 offset:428 ; 4-byte Folded Spill
	buffer_store_dword v92, off, s[48:51], 0 offset:432 ; 4-byte Folded Spill
	;; [unrolled: 1-line block ×4, first 2 shown]
	s_waitcnt vmcnt(4) lgkmcnt(7)
	v_mul_f64 v[59:60], v[2:3], v[97:98]
	v_fma_f64 v[67:68], v[12:13], v[83:84], -v[67:68]
	v_fma_f64 v[71:72], v[8:9], v[79:80], -v[71:72]
	s_waitcnt vmcnt(3) lgkmcnt(3)
	v_mul_f64 v[12:13], v[45:46], v[120:121]
	v_fma_f64 v[75:76], v[4:5], v[99:100], -v[75:76]
	v_fma_f64 v[59:60], v[0:1], v[95:96], -v[59:60]
	v_add_f64 v[28:29], v[71:72], -v[67:68]
	v_fma_f64 v[22:23], v[22:23], v[91:92], v[61:62]
	v_fma_f64 v[61:62], v[16:17], v[87:88], -v[63:64]
	buffer_store_dword v87, off, s[48:51], 0 offset:412 ; 4-byte Folded Spill
	buffer_store_dword v88, off, s[48:51], 0 offset:416 ; 4-byte Folded Spill
	;; [unrolled: 1-line block ×4, first 2 shown]
	v_fma_f64 v[63:64], v[18:19], v[87:88], v[65:66]
	ds_read_b128 v[16:19], v132 offset:8736
	buffer_store_dword v83, off, s[48:51], 0 offset:396 ; 4-byte Folded Spill
	buffer_store_dword v84, off, s[48:51], 0 offset:400 ; 4-byte Folded Spill
	;; [unrolled: 1-line block ×8, first 2 shown]
	v_mul_f64 v[65:66], v[0:1], v[97:98]
	s_waitcnt vmcnt(1)
	v_mul_f64 v[81:82], v[35:36], v[109:110]
	s_waitcnt lgkmcnt(0)
	v_mul_f64 v[4:5], v[18:19], v[116:117]
	v_fma_f64 v[69:70], v[14:15], v[83:84], v[69:70]
	v_fma_f64 v[73:74], v[10:11], v[79:80], v[73:74]
	ds_read_b128 v[8:11], v132 offset:10192
	buffer_store_dword v99, off, s[48:51], 0 offset:460 ; 4-byte Folded Spill
	buffer_store_dword v100, off, s[48:51], 0 offset:464 ; 4-byte Folded Spill
	;; [unrolled: 1-line block ×8, first 2 shown]
	v_mul_f64 v[14:15], v[43:44], v[120:121]
	v_fma_f64 v[43:44], v[43:44], v[118:119], -v[12:13]
	buffer_store_dword v118, off, s[48:51], 0 offset:524 ; 4-byte Folded Spill
	buffer_store_dword v119, off, s[48:51], 0 offset:528 ; 4-byte Folded Spill
	;; [unrolled: 1-line block ×4, first 2 shown]
	v_fma_f64 v[83:84], v[16:17], v[114:115], -v[4:5]
	v_mul_f64 v[79:80], v[37:38], v[109:110]
	v_fma_f64 v[79:80], v[35:36], v[107:108], -v[79:80]
	v_fma_f64 v[77:78], v[6:7], v[99:100], v[77:78]
	v_mul_f64 v[6:7], v[16:17], v[116:117]
	v_fma_f64 v[65:66], v[2:3], v[95:96], v[65:66]
	ds_read_b128 v[0:3], v132 offset:17472
	buffer_store_dword v114, off, s[48:51], 0 offset:508 ; 4-byte Folded Spill
	buffer_store_dword v115, off, s[48:51], 0 offset:512 ; 4-byte Folded Spill
	;; [unrolled: 1-line block ×4, first 2 shown]
	v_fma_f64 v[45:46], v[45:46], v[118:119], v[14:15]
	s_waitcnt vmcnt(0) lgkmcnt(0)
	v_mul_f64 v[12:13], v[2:3], v[105:106]
	v_mul_f64 v[14:15], v[0:1], v[105:106]
	v_fma_f64 v[87:88], v[0:1], v[103:104], -v[12:13]
	v_fma_f64 v[85:86], v[18:19], v[114:115], v[6:7]
	ds_read_b128 v[4:7], v132 offset:18928
	buffer_store_dword v107, off, s[48:51], 0 offset:492 ; 4-byte Folded Spill
	buffer_store_dword v108, off, s[48:51], 0 offset:496 ; 4-byte Folded Spill
	;; [unrolled: 1-line block ×8, first 2 shown]
	s_clause 0x1
	global_load_dwordx4 v[220:223], v30, s[2:3] offset:64
	global_load_dwordx4 v[216:219], v30, s[2:3] offset:80
	v_add_f64 v[18:19], v[20:21], v[59:60]
	v_add_f64 v[20:21], v[20:21], -v[59:60]
	v_fma_f64 v[81:82], v[37:38], v[107:108], v[81:82]
	v_fma_f64 v[89:90], v[2:3], v[103:104], v[14:15]
	v_add_f64 v[36:37], v[69:70], v[73:74]
	s_waitcnt vmcnt(1)
	v_mul_f64 v[0:1], v[49:50], v[222:223]
	v_add_f64 v[122:123], v[81:82], v[89:90]
	v_fma_f64 v[91:92], v[47:48], v[220:221], -v[0:1]
	v_mul_f64 v[0:1], v[47:48], v[222:223]
	v_fma_f64 v[47:48], v[49:50], v[220:221], v[0:1]
	ds_read_b128 v[0:3], v132 offset:26208
	ds_read_b128 v[12:15], v132 offset:27664
	s_waitcnt vmcnt(0) lgkmcnt(1)
	v_mul_f64 v[16:17], v[2:3], v[218:219]
	v_add_f64 v[120:121], v[85:86], v[47:48]
	v_fma_f64 v[49:50], v[0:1], v[216:217], -v[16:17]
	v_mul_f64 v[0:1], v[0:1], v[218:219]
	v_fma_f64 v[0:1], v[2:3], v[216:217], v[0:1]
	v_and_b32_e32 v2, 0xff, v24
	v_mul_lo_u16 v2, 0x4f, v2
	v_lshrrev_b16 v111, 10, v2
	v_mul_lo_u16 v2, v111, 13
	v_sub_nc_u16 v2, v24, v2
	v_and_b32_e32 v150, 0xff, v2
	v_mul_u32_u24_e32 v2, 6, v150
	v_lshlrev_b32_e32 v16, 4, v2
	s_clause 0x5
	global_load_dwordx4 v[240:243], v16, s[2:3]
	global_load_dwordx4 v[228:231], v16, s[2:3] offset:16
	global_load_dwordx4 v[236:239], v16, s[2:3] offset:32
	;; [unrolled: 1-line block ×5, first 2 shown]
	s_waitcnt vmcnt(5)
	v_mul_f64 v[2:3], v[33:34], v[242:243]
	v_fma_f64 v[93:94], v[31:32], v[240:241], -v[2:3]
	v_mul_f64 v[2:3], v[31:32], v[242:243]
	v_add_f64 v[30:31], v[67:68], v[71:72]
	v_fma_f64 v[95:96], v[33:34], v[240:241], v[2:3]
	s_waitcnt vmcnt(4)
	v_mul_f64 v[2:3], v[10:11], v[230:231]
	v_add_f64 v[32:33], v[22:23], v[65:66]
	v_add_f64 v[34:35], v[63:64], v[77:78]
	v_add_f64 v[22:23], v[22:23], -v[65:66]
	v_fma_f64 v[97:98], v[8:9], v[228:229], -v[2:3]
	v_mul_f64 v[2:3], v[8:9], v[230:231]
	v_fma_f64 v[99:100], v[10:11], v[228:229], v[2:3]
	s_waitcnt vmcnt(3)
	v_mul_f64 v[2:3], v[41:42], v[238:239]
	v_fma_f64 v[101:102], v[39:40], v[236:237], -v[2:3]
	v_mul_f64 v[2:3], v[39:40], v[238:239]
	v_fma_f64 v[103:104], v[41:42], v[236:237], v[2:3]
	s_waitcnt vmcnt(2)
	v_mul_f64 v[2:3], v[6:7], v[226:227]
	v_add_f64 v[40:41], v[83:84], v[91:92]
	v_fma_f64 v[105:106], v[4:5], v[224:225], -v[2:3]
	v_mul_f64 v[2:3], v[4:5], v[226:227]
	v_add_f64 v[130:131], v[101:102], v[105:106]
	v_fma_f64 v[107:108], v[6:7], v[224:225], v[2:3]
	s_waitcnt vmcnt(1)
	v_mul_f64 v[2:3], v[53:54], v[246:247]
	v_add_f64 v[140:141], v[103:104], v[107:108]
	v_fma_f64 v[109:110], v[51:52], v[244:245], -v[2:3]
	v_mul_f64 v[2:3], v[51:52], v[246:247]
	v_add_f64 v[51:52], v[43:44], v[49:50]
	v_add_f64 v[49:50], v[43:44], -v[49:50]
	v_add_f64 v[42:43], v[85:86], -v[47:48]
	v_add_f64 v[128:129], v[97:98], v[109:110]
	v_fma_f64 v[114:115], v[53:54], v[244:245], v[2:3]
	s_waitcnt vmcnt(0) lgkmcnt(0)
	v_mul_f64 v[2:3], v[14:15], v[234:235]
	v_add_f64 v[53:54], v[79:80], v[87:88]
	v_add_f64 v[6:7], v[40:41], v[51:52]
	;; [unrolled: 1-line block ×3, first 2 shown]
	v_fma_f64 v[116:117], v[12:13], v[232:233], -v[2:3]
	v_mul_f64 v[2:3], v[12:13], v[234:235]
	v_add_f64 v[126:127], v[93:94], v[116:117]
	v_fma_f64 v[118:119], v[14:15], v[232:233], v[2:3]
	v_add_f64 v[14:15], v[61:62], v[75:76]
	v_add_f64 v[134:135], v[128:129], v[126:127]
	;; [unrolled: 1-line block ×4, first 2 shown]
	v_add_f64 v[59:60], v[14:15], -v[18:19]
	v_add_f64 v[18:19], v[18:19], -v[30:31]
	v_add_f64 v[134:135], v[130:131], v[134:135]
	v_add_f64 v[142:143], v[138:139], v[136:137]
	;; [unrolled: 1-line block ×10, first 2 shown]
	v_add_f64 v[0:1], v[45:46], -v[0:1]
	v_fma_f64 v[38:39], v[38:39], s[0:1], v[4:5]
	v_add_f64 v[6:7], v[120:121], v[57:58]
	v_add_f64 v[124:125], v[122:123], v[6:7]
	ds_read_b128 v[6:9], v132
	ds_read_b128 v[10:13], v132 offset:1456
	s_waitcnt lgkmcnt(0)
	s_waitcnt_vscnt null, 0x0
	s_barrier
	buffer_gl0_inv
	v_add_f64 v[6:7], v[6:7], v[55:56]
	v_add_f64 v[10:11], v[10:11], v[134:135]
	;; [unrolled: 1-line block ×4, first 2 shown]
	v_fma_f64 v[144:145], v[55:56], s[0:1], v[6:7]
	v_add_f64 v[55:56], v[73:74], -v[69:70]
	v_fma_f64 v[124:125], v[124:125], s[0:1], v[8:9]
	ds_write_b128 v152, v[6:9]
	v_add_f64 v[6:7], v[61:62], -v[75:76]
	v_add_f64 v[8:9], v[63:64], -v[77:78]
	;; [unrolled: 1-line block ×7, first 2 shown]
	v_mul_f64 v[36:37], v[18:19], s[22:23]
	v_fma_f64 v[77:78], v[16:17], s[0:1], v[2:3]
	v_add_f64 v[14:15], v[28:29], v[6:7]
	v_add_f64 v[65:66], v[28:29], -v[6:7]
	v_add_f64 v[67:68], v[6:7], -v[20:21]
	v_add_f64 v[6:7], v[55:56], v[8:9]
	v_add_f64 v[69:70], v[55:56], -v[8:9]
	v_add_f64 v[71:72], v[8:9], -v[22:23]
	v_mul_f64 v[8:9], v[34:35], s[4:5]
	v_add_f64 v[73:74], v[14:15], v[20:21]
	v_mul_f64 v[65:66], v[65:66], s[18:19]
	v_mul_f64 v[20:21], v[67:68], s[14:15]
	v_add_f64 v[75:76], v[6:7], v[22:23]
	v_mul_f64 v[69:70], v[69:70], s[18:19]
	v_add_f64 v[22:23], v[22:23], -v[55:56]
	v_mul_f64 v[28:29], v[71:72], s[14:15]
	v_mul_f64 v[55:56], v[30:31], s[22:23]
	v_fma_f64 v[8:9], v[63:64], s[16:17], -v[8:9]
	v_mul_f64 v[6:7], v[61:62], s[4:5]
	v_fma_f64 v[14:15], v[67:68], s[14:15], -v[65:66]
	v_fma_f64 v[18:19], v[32:33], s[26:27], -v[20:21]
	v_fma_f64 v[32:33], v[32:33], s[20:21], v[65:66]
	v_add_f64 v[65:66], v[120:121], -v[57:58]
	v_add_f64 v[67:68], v[122:123], -v[120:121]
	v_fma_f64 v[20:21], v[22:23], s[26:27], -v[28:29]
	v_fma_f64 v[28:29], v[59:60], s[24:25], -v[36:37]
	;; [unrolled: 1-line block ×3, first 2 shown]
	v_fma_f64 v[22:23], v[22:23], s[20:21], v[69:70]
	v_fma_f64 v[36:37], v[61:62], s[4:5], v[36:37]
	;; [unrolled: 1-line block ×3, first 2 shown]
	v_add_f64 v[148:149], v[8:9], v[38:39]
	v_fma_f64 v[6:7], v[59:60], s[16:17], -v[6:7]
	v_add_f64 v[61:62], v[40:41], -v[51:52]
	v_add_f64 v[51:52], v[51:52], -v[53:54]
	v_fma_f64 v[16:17], v[73:74], s[12:13], v[14:15]
	v_fma_f64 v[59:60], v[73:74], s[12:13], v[18:19]
	;; [unrolled: 1-line block ×3, first 2 shown]
	v_fma_f64 v[14:15], v[71:72], s[14:15], -v[69:70]
	v_add_f64 v[71:72], v[42:43], -v[0:1]
	v_fma_f64 v[63:64], v[75:76], s[12:13], v[20:21]
	v_add_f64 v[28:29], v[28:29], v[77:78]
	v_add_f64 v[30:31], v[30:31], v[38:39]
	v_fma_f64 v[22:23], v[75:76], s[12:13], v[22:23]
	v_add_f64 v[36:37], v[36:37], v[77:78]
	v_add_f64 v[38:39], v[34:35], v[38:39]
	;; [unrolled: 1-line block ×4, first 2 shown]
	v_add_f64 v[16:17], v[148:149], -v[16:17]
	v_fma_f64 v[14:15], v[75:76], s[12:13], v[14:15]
	v_add_f64 v[18:19], v[63:64], v[28:29]
	v_add_f64 v[20:21], v[30:31], -v[59:60]
	v_add_f64 v[30:31], v[59:60], v[30:31]
	v_add_f64 v[32:33], v[22:23], v[36:37]
	v_add_f64 v[34:35], v[38:39], -v[55:56]
	v_add_f64 v[36:37], v[36:37], -v[22:23]
	v_add_f64 v[38:39], v[55:56], v[38:39]
	v_add_f64 v[22:23], v[83:84], -v[91:92]
	v_add_f64 v[55:56], v[87:88], -v[79:80]
	;; [unrolled: 1-line block ×9, first 2 shown]
	v_add_f64 v[14:15], v[14:15], v[146:147]
	v_add_f64 v[44:45], v[55:56], -v[22:23]
	v_add_f64 v[40:41], v[55:56], v[22:23]
	v_add_f64 v[22:23], v[22:23], -v[49:50]
	v_add_f64 v[69:70], v[59:60], -v[42:43]
	v_add_f64 v[46:47], v[59:60], v[42:43]
	v_add_f64 v[56:57], v[49:50], -v[55:56]
	v_mul_f64 v[42:43], v[67:68], s[4:5]
	v_mul_f64 v[77:78], v[44:45], s[18:19]
	v_add_f64 v[73:74], v[40:41], v[49:50]
	v_mul_f64 v[48:49], v[71:72], s[14:15]
	v_mul_f64 v[69:70], v[69:70], s[18:19]
	v_add_f64 v[75:76], v[46:47], v[0:1]
	v_add_f64 v[0:1], v[0:1], -v[59:60]
	v_mul_f64 v[58:59], v[51:52], s[22:23]
	v_mul_f64 v[40:41], v[63:64], s[4:5]
	v_fma_f64 v[42:43], v[65:66], s[16:17], -v[42:43]
	v_fma_f64 v[44:45], v[22:23], s[14:15], -v[77:78]
	v_mul_f64 v[22:23], v[22:23], s[14:15]
	v_fma_f64 v[48:49], v[0:1], s[26:27], -v[48:49]
	v_fma_f64 v[50:51], v[61:62], s[24:25], -v[58:59]
	;; [unrolled: 1-line block ×3, first 2 shown]
	v_fma_f64 v[0:1], v[0:1], s[20:21], v[69:70]
	v_add_f64 v[81:82], v[42:43], v[124:125]
	v_fma_f64 v[46:47], v[73:74], s[12:13], v[44:45]
	v_fma_f64 v[44:45], v[71:72], s[14:15], -v[69:70]
	v_mul_f64 v[71:72], v[53:54], s[22:23]
	v_fma_f64 v[22:23], v[56:57], s[26:27], -v[22:23]
	v_fma_f64 v[54:55], v[75:76], s[12:13], v[48:49]
	v_add_f64 v[60:61], v[50:51], v[144:145]
	v_add_f64 v[79:80], v[40:41], v[144:145]
	v_fma_f64 v[0:1], v[75:76], s[12:13], v[0:1]
	v_add_f64 v[42:43], v[46:47], v[81:82]
	v_fma_f64 v[44:45], v[75:76], s[12:13], v[44:45]
	v_fma_f64 v[52:53], v[65:66], s[24:25], -v[71:72]
	v_fma_f64 v[22:23], v[73:74], s[12:13], v[22:23]
	v_add_f64 v[46:47], v[81:82], -v[46:47]
	v_add_f64 v[48:49], v[54:55], v[60:61]
	v_add_f64 v[40:41], v[79:80], -v[44:45]
	v_add_f64 v[65:66], v[52:53], v[124:125]
	;; [unrolled: 2-line block ×3, first 2 shown]
	v_add_f64 v[80:81], v[138:139], -v[136:137]
	v_add_f64 v[50:51], v[65:66], -v[22:23]
	v_add_f64 v[54:55], v[22:23], v[65:66]
	v_fma_f64 v[22:23], v[56:57], s[20:21], v[77:78]
	v_fma_f64 v[56:57], v[63:64], s[4:5], v[58:59]
	;; [unrolled: 1-line block ×3, first 2 shown]
	v_add_f64 v[64:65], v[99:100], -v[114:115]
	v_add_f64 v[76:77], v[95:96], -v[118:119]
	;; [unrolled: 1-line block ×3, first 2 shown]
	v_fma_f64 v[22:23], v[73:74], s[12:13], v[22:23]
	v_add_f64 v[60:61], v[56:57], v[144:145]
	v_add_f64 v[62:63], v[58:59], v[124:125]
	v_add_f64 v[72:73], v[93:94], -v[116:117]
	v_add_f64 v[74:75], v[107:108], -v[103:104]
	v_add_f64 v[88:89], v[64:65], -v[76:77]
	v_add_f64 v[56:57], v[0:1], v[60:61]
	v_add_f64 v[58:59], v[62:63], -v[22:23]
	v_add_f64 v[60:61], v[60:61], -v[0:1]
	v_add_f64 v[62:63], v[22:23], v[62:63]
	v_add_f64 v[0:1], v[97:98], -v[109:110]
	v_add_f64 v[22:23], v[105:106], -v[101:102]
	;; [unrolled: 1-line block ×3, first 2 shown]
	v_add_f64 v[70:71], v[74:75], v[64:65]
	v_mul_f64 v[64:65], v[84:85], s[4:5]
	v_fma_f64 v[98:99], v[134:135], s[0:1], v[10:11]
	v_fma_f64 v[100:101], v[142:143], s[0:1], v[12:13]
	ds_write_b128 v152, v[56:59] offset:208
	ds_write_b128 v152, v[48:51] offset:416
	;; [unrolled: 1-line block ×5, first 2 shown]
	buffer_store_dword v152, off, s[48:51], 0 offset:572 ; 4-byte Folded Spill
	ds_write_b128 v152, v[60:63] offset:1248
	v_add_f64 v[68:69], v[22:23], -v[0:1]
	v_add_f64 v[66:67], v[22:23], v[0:1]
	v_add_f64 v[0:1], v[0:1], -v[72:73]
	v_mul_f64 v[96:97], v[82:83], s[18:19]
	v_add_f64 v[92:93], v[70:71], v[76:77]
	v_fma_f64 v[64:65], v[78:79], s[16:17], -v[64:65]
	v_add_f64 v[22:23], v[72:73], -v[22:23]
	v_add_f64 v[76:77], v[76:77], -v[74:75]
	v_mul_f64 v[94:95], v[68:69], s[18:19]
	v_add_f64 v[90:91], v[66:67], v[72:73]
	v_mul_f64 v[66:67], v[86:87], s[4:5]
	v_mul_f64 v[72:73], v[88:89], s[14:15]
	v_add_f64 v[82:83], v[64:65], v[98:99]
	v_fma_f64 v[68:69], v[0:1], s[14:15], -v[94:95]
	v_mul_f64 v[0:1], v[0:1], s[14:15]
	v_fma_f64 v[66:67], v[80:81], s[16:17], -v[66:67]
	v_fma_f64 v[72:73], v[76:77], s[26:27], -v[72:73]
	v_fma_f64 v[70:71], v[90:91], s[12:13], v[68:69]
	v_fma_f64 v[68:69], v[88:89], s[14:15], -v[96:97]
	v_add_f64 v[102:103], v[66:67], v[100:101]
	v_fma_f64 v[0:1], v[22:23], s[26:27], -v[0:1]
	v_fma_f64 v[68:69], v[92:93], s[12:13], v[68:69]
	v_add_f64 v[66:67], v[70:71], v[102:103]
	v_add_f64 v[70:71], v[102:103], -v[70:71]
	v_add_f64 v[102:103], v[136:137], -v[140:141]
	v_fma_f64 v[0:1], v[90:91], s[12:13], v[0:1]
	v_add_f64 v[64:65], v[82:83], -v[68:69]
	v_add_f64 v[68:69], v[68:69], v[82:83]
	v_add_f64 v[82:83], v[126:127], -v[130:131]
	v_mul_f64 v[102:103], v[102:103], s[22:23]
	v_mul_f64 v[88:89], v[82:83], s[22:23]
	v_fma_f64 v[74:75], v[78:79], s[24:25], -v[88:89]
	v_fma_f64 v[78:79], v[80:81], s[24:25], -v[102:103]
	v_fma_f64 v[80:81], v[92:93], s[12:13], v[72:73]
	v_add_f64 v[82:83], v[74:75], v[98:99]
	v_add_f64 v[78:79], v[78:79], v[100:101]
	;; [unrolled: 1-line block ×3, first 2 shown]
	v_add_f64 v[74:75], v[78:79], -v[0:1]
	v_add_f64 v[80:81], v[82:83], -v[80:81]
	v_add_f64 v[82:83], v[0:1], v[78:79]
	v_fma_f64 v[0:1], v[22:23], s[20:21], v[94:95]
	v_fma_f64 v[22:23], v[76:77], s[20:21], v[96:97]
	;; [unrolled: 1-line block ×6, first 2 shown]
	v_add_f64 v[76:77], v[76:77], v[98:99]
	v_add_f64 v[78:79], v[78:79], v[100:101]
	;; [unrolled: 1-line block ×3, first 2 shown]
	v_add_f64 v[106:107], v[78:79], -v[0:1]
	v_add_f64 v[114:115], v[76:77], -v[22:23]
	v_add_f64 v[116:117], v[0:1], v[78:79]
	v_mul_u32_u24_sdwa v0, v111, v151 dst_sel:DWORD dst_unused:UNUSED_PAD src0_sel:WORD_0 src1_sel:DWORD
	v_add_lshl_u32 v22, v0, v150, 4
	v_mad_u16 v0, 0x5b, v26, v27
	ds_write_b128 v22, v[10:13]
	ds_write_b128 v22, v[104:107] offset:208
	ds_write_b128 v22, v[72:75] offset:416
	;; [unrolled: 1-line block ×3, first 2 shown]
	v_lshlrev_b32_sdwa v10, v171, v0 dst_sel:DWORD dst_unused:UNUSED_PAD src0_sel:DWORD src1_sel:WORD_0
	v_mad_u64_u32 v[0:1], null, 0x60, v170, s[2:3]
	ds_write_b128 v22, v[68:71] offset:832
	ds_write_b128 v22, v[80:83] offset:1040
	buffer_store_dword v22, off, s[48:51], 0 offset:588 ; 4-byte Folded Spill
	ds_write_b128 v22, v[114:117] offset:1248
	ds_write_b128 v10, v[2:5]
	ds_write_b128 v10, v[32:35] offset:208
	ds_write_b128 v10, v[18:21] offset:416
	;; [unrolled: 1-line block ×5, first 2 shown]
	buffer_store_dword v10, off, s[48:51], 0 offset:580 ; 4-byte Folded Spill
	ds_write_b128 v10, v[36:39] offset:1248
	s_waitcnt lgkmcnt(0)
	s_waitcnt_vscnt null, 0x0
	s_barrier
	buffer_gl0_inv
	s_clause 0x3
	global_load_dwordx4 v[124:127], v[0:1], off offset:1248
	global_load_dwordx4 v[120:123], v[0:1], off offset:1264
	;; [unrolled: 1-line block ×4, first 2 shown]
	ds_read_b128 v[2:5], v132 offset:4368
	ds_read_b128 v[6:9], v132 offset:2912
	;; [unrolled: 1-line block ×4, first 2 shown]
	s_waitcnt vmcnt(3) lgkmcnt(3)
	v_mul_f64 v[18:19], v[4:5], v[126:127]
	v_mul_f64 v[20:21], v[2:3], v[126:127]
	s_waitcnt vmcnt(2) lgkmcnt(1)
	v_mul_f64 v[22:23], v[12:13], v[122:123]
	v_mul_f64 v[26:27], v[10:11], v[122:123]
	v_fma_f64 v[38:39], v[2:3], v[124:125], -v[18:19]
	v_fma_f64 v[40:41], v[4:5], v[124:125], v[20:21]
	ds_read_b128 v[2:5], v132 offset:13104
	v_fma_f64 v[22:23], v[10:11], v[120:121], -v[22:23]
	v_fma_f64 v[42:43], v[12:13], v[120:121], v[26:27]
	ds_read_b128 v[10:13], v132 offset:11648
	s_waitcnt vmcnt(1) lgkmcnt(1)
	v_mul_f64 v[18:19], v[4:5], v[118:119]
	v_fma_f64 v[44:45], v[2:3], v[116:117], -v[18:19]
	v_mul_f64 v[2:3], v[2:3], v[118:119]
	v_fma_f64 v[46:47], v[4:5], v[116:117], v[2:3]
	ds_read_b128 v[2:5], v132 offset:17472
	ds_read_b128 v[18:21], v132 offset:18928
	s_clause 0x1
	global_load_dwordx4 v[164:167], v[0:1], off offset:1312
	global_load_dwordx4 v[148:151], v[0:1], off offset:1328
	s_waitcnt vmcnt(2) lgkmcnt(1)
	v_mul_f64 v[26:27], v[4:5], v[106:107]
	v_fma_f64 v[48:49], v[2:3], v[104:105], -v[26:27]
	v_mul_f64 v[2:3], v[2:3], v[106:107]
	v_fma_f64 v[50:51], v[4:5], v[104:105], v[2:3]
	ds_read_b128 v[0:3], v132 offset:21840
	ds_read_b128 v[26:29], v132 offset:20384
	s_waitcnt vmcnt(1) lgkmcnt(1)
	v_mul_f64 v[4:5], v[2:3], v[166:167]
	v_fma_f64 v[52:53], v[0:1], v[164:165], -v[4:5]
	v_mul_f64 v[0:1], v[0:1], v[166:167]
	v_fma_f64 v[54:55], v[2:3], v[164:165], v[0:1]
	ds_read_b128 v[0:3], v132 offset:26208
	ds_read_b128 v[30:33], v132 offset:27664
	;; [unrolled: 7-line block ×3, first 2 shown]
	s_waitcnt lgkmcnt(1)
	v_mul_f64 v[4:5], v[2:3], v[126:127]
	v_fma_f64 v[60:61], v[0:1], v[124:125], -v[4:5]
	v_mul_f64 v[0:1], v[0:1], v[126:127]
	v_fma_f64 v[62:63], v[2:3], v[124:125], v[0:1]
	v_mul_f64 v[0:1], v[16:17], v[122:123]
	v_fma_f64 v[64:65], v[14:15], v[120:121], -v[0:1]
	v_mul_f64 v[0:1], v[14:15], v[122:123]
	v_fma_f64 v[66:67], v[16:17], v[120:121], v[0:1]
	ds_read_b128 v[0:3], v132 offset:14560
	ds_read_b128 v[14:17], v132 offset:16016
	s_waitcnt lgkmcnt(1)
	v_mul_f64 v[4:5], v[2:3], v[118:119]
	v_fma_f64 v[68:69], v[0:1], v[116:117], -v[4:5]
	v_mul_f64 v[0:1], v[0:1], v[118:119]
	v_fma_f64 v[70:71], v[2:3], v[116:117], v[0:1]
	v_mul_f64 v[0:1], v[20:21], v[106:107]
	v_fma_f64 v[72:73], v[18:19], v[104:105], -v[0:1]
	v_mul_f64 v[0:1], v[18:19], v[106:107]
	v_add_f64 v[128:129], v[68:69], v[72:73]
	v_fma_f64 v[74:75], v[20:21], v[104:105], v[0:1]
	ds_read_b128 v[0:3], v132 offset:23296
	ds_read_b128 v[18:21], v132 offset:24752
	s_waitcnt lgkmcnt(1)
	v_mul_f64 v[4:5], v[2:3], v[166:167]
	v_add_f64 v[136:137], v[70:71], v[74:75]
	v_fma_f64 v[76:77], v[0:1], v[164:165], -v[4:5]
	v_mul_f64 v[0:1], v[0:1], v[166:167]
	v_fma_f64 v[78:79], v[2:3], v[164:165], v[0:1]
	v_mul_f64 v[0:1], v[32:33], v[150:151]
	v_add_f64 v[134:135], v[66:67], v[78:79]
	v_fma_f64 v[80:81], v[30:31], v[148:149], -v[0:1]
	v_mul_f64 v[0:1], v[30:31], v[150:151]
	v_add_f64 v[30:31], v[46:47], v[50:51]
	v_add_f64 v[114:115], v[60:61], v[80:81]
	v_fma_f64 v[82:83], v[32:33], v[148:149], v[0:1]
	v_mov_b32_e32 v0, 0x6817
	v_mul_u32_u24_sdwa v0, v25, v0 dst_sel:DWORD dst_unused:UNUSED_PAD src0_sel:WORD_0 src1_sel:DWORD
	v_lshrrev_b32_e32 v0, 16, v0
	v_sub_nc_u16 v1, v25, v0
	v_lshrrev_b16 v1, 1, v1
	v_add_f64 v[130:131], v[62:63], v[82:83]
	v_add_nc_u16 v0, v1, v0
	v_lshrrev_b16 v0, 6, v0
	v_mul_lo_u16 v0, 0x5b, v0
	v_sub_nc_u16 v0, v25, v0
	v_add_f64 v[138:139], v[134:135], v[130:131]
	v_mul_lo_u16 v1, 0x60, v0
	v_lshlrev_b32_sdwa v0, v171, v0 dst_sel:DWORD dst_unused:UNUSED_PAD src0_sel:DWORD src1_sel:WORD_0
	v_and_b32_e32 v1, 0xffff, v1
	v_add_co_u32 v1, s28, s2, v1
	v_add_co_ci_u32_e64 v2, null, s3, 0, s28
	s_clause 0x5
	global_load_dwordx4 v[204:207], v[1:2], off offset:1248
	global_load_dwordx4 v[200:203], v[1:2], off offset:1264
	;; [unrolled: 1-line block ×6, first 2 shown]
	v_add_f64 v[138:139], v[136:137], v[138:139]
	s_waitcnt vmcnt(5)
	v_mul_f64 v[3:4], v[36:37], v[206:207]
	s_waitcnt vmcnt(1) lgkmcnt(0)
	v_mul_f64 v[1:2], v[20:21], v[214:215]
	v_fma_f64 v[84:85], v[34:35], v[204:205], -v[3:4]
	v_mul_f64 v[3:4], v[34:35], v[206:207]
	v_fma_f64 v[100:101], v[18:19], v[212:213], -v[1:2]
	v_mul_f64 v[1:2], v[18:19], v[214:215]
	v_add_f64 v[18:19], v[44:45], v[48:49]
	v_add_f64 v[34:35], v[64:65], v[76:77]
	v_fma_f64 v[86:87], v[36:37], v[204:205], v[3:4]
	v_mul_f64 v[3:4], v[12:13], v[202:203]
	v_fma_f64 v[102:103], v[20:21], v[212:213], v[1:2]
	v_add_f64 v[36:37], v[34:35], v[114:115]
	v_fma_f64 v[88:89], v[10:11], v[200:201], -v[3:4]
	v_mul_f64 v[3:4], v[10:11], v[202:203]
	v_add_f64 v[36:37], v[128:129], v[36:37]
	v_add_f64 v[142:143], v[88:89], v[100:101]
	v_fma_f64 v[90:91], v[12:13], v[200:201], v[3:4]
	v_mul_f64 v[3:4], v[16:17], v[198:199]
	v_add_f64 v[156:157], v[90:91], v[102:103]
	v_fma_f64 v[92:93], v[14:15], v[196:197], -v[3:4]
	v_mul_f64 v[3:4], v[14:15], v[198:199]
	v_add_f64 v[14:15], v[38:39], v[56:57]
	v_fma_f64 v[94:95], v[16:17], v[196:197], v[3:4]
	v_mul_f64 v[3:4], v[28:29], v[194:195]
	v_add_f64 v[16:17], v[22:23], v[52:53]
	v_fma_f64 v[96:97], v[26:27], v[192:193], -v[3:4]
	v_mul_f64 v[3:4], v[26:27], v[194:195]
	v_add_f64 v[26:27], v[40:41], v[58:59]
	v_add_f64 v[144:145], v[92:93], v[96:97]
	v_fma_f64 v[98:99], v[28:29], v[192:193], v[3:4]
	ds_read_b128 v[1:4], v132 offset:29120
	v_add_f64 v[28:29], v[42:43], v[54:55]
	s_waitcnt vmcnt(0) lgkmcnt(0)
	v_mul_f64 v[10:11], v[3:4], v[210:211]
	v_add_f64 v[158:159], v[94:95], v[98:99]
	v_fma_f64 v[108:109], v[1:2], v[208:209], -v[10:11]
	v_mul_f64 v[1:2], v[1:2], v[210:211]
	v_add_f64 v[140:141], v[84:85], v[108:109]
	v_fma_f64 v[110:111], v[3:4], v[208:209], v[1:2]
	v_add_f64 v[1:2], v[16:17], v[14:15]
	v_add_f64 v[152:153], v[142:143], v[140:141]
	;; [unrolled: 1-line block ×8, first 2 shown]
	ds_read_b128 v[1:4], v132
	ds_read_b128 v[10:13], v132 offset:1456
	s_waitcnt lgkmcnt(0)
	s_barrier
	buffer_gl0_inv
	v_add_f64 v[5:6], v[6:7], v[152:153]
	v_add_f64 v[1:2], v[1:2], v[20:21]
	;; [unrolled: 1-line block ×6, first 2 shown]
	v_fma_f64 v[162:163], v[20:21], s[0:1], v[1:2]
	v_add_f64 v[20:21], v[48:49], -v[44:45]
	ds_write_b128 v132, v[1:4]
	v_add_f64 v[1:2], v[22:23], -v[52:53]
	v_fma_f64 v[32:33], v[32:33], s[0:1], v[3:4]
	v_fma_f64 v[168:169], v[36:37], s[0:1], v[10:11]
	;; [unrolled: 1-line block ×3, first 2 shown]
	ds_write_b128 v132, v[10:13] offset:10192
	v_add_f64 v[22:23], v[38:39], -v[56:57]
	v_add_f64 v[3:4], v[42:43], -v[54:55]
	;; [unrolled: 1-line block ×4, first 2 shown]
	v_add_f64 v[7:8], v[8:9], v[160:161]
	v_add_f64 v[40:41], v[16:17], -v[14:15]
	v_add_f64 v[42:43], v[18:19], -v[16:17]
	;; [unrolled: 1-line block ×7, first 2 shown]
	v_add_f64 v[9:10], v[20:21], v[1:2]
	v_add_f64 v[44:45], v[1:2], -v[22:23]
	v_add_f64 v[1:2], v[36:37], v[3:4]
	v_add_f64 v[48:49], v[3:4], -v[38:39]
	v_add_f64 v[46:47], v[36:37], -v[3:4]
	;; [unrolled: 1-line block ×3, first 2 shown]
	v_mul_f64 v[3:4], v[28:29], s[4:5]
	v_mul_f64 v[54:55], v[11:12], s[18:19]
	v_add_f64 v[50:51], v[9:10], v[22:23]
	v_add_f64 v[21:22], v[22:23], -v[20:21]
	v_mul_f64 v[30:31], v[44:45], s[14:15]
	v_add_f64 v[52:53], v[1:2], v[38:39]
	v_mul_f64 v[36:37], v[48:49], s[14:15]
	v_mul_f64 v[38:39], v[13:14], s[22:23]
	;; [unrolled: 1-line block ×4, first 2 shown]
	v_fma_f64 v[3:4], v[16:17], s[16:17], -v[3:4]
	v_fma_f64 v[9:10], v[44:45], s[14:15], -v[54:55]
	v_mul_f64 v[44:45], v[18:19], s[22:23]
	v_fma_f64 v[13:14], v[21:22], s[26:27], -v[30:31]
	v_fma_f64 v[21:22], v[21:22], s[20:21], v[54:55]
	v_add_f64 v[54:55], v[134:135], -v[130:131]
	v_fma_f64 v[18:19], v[26:27], s[26:27], -v[36:37]
	v_fma_f64 v[30:31], v[40:41], s[24:25], -v[38:39]
	v_fma_f64 v[26:27], v[26:27], s[20:21], v[46:47]
	v_fma_f64 v[1:2], v[40:41], s[16:17], -v[1:2]
	v_add_f64 v[58:59], v[3:4], v[32:33]
	v_fma_f64 v[11:12], v[50:51], s[12:13], v[9:10]
	v_fma_f64 v[15:16], v[16:17], s[24:25], -v[44:45]
	v_fma_f64 v[28:29], v[28:29], s[4:5], v[44:45]
	v_fma_f64 v[9:10], v[48:49], s[14:15], -v[46:47]
	v_add_f64 v[44:45], v[60:61], -v[80:81]
	v_fma_f64 v[36:37], v[50:51], s[12:13], v[13:14]
	v_fma_f64 v[21:22], v[50:51], s[12:13], v[21:22]
	v_add_f64 v[46:47], v[74:75], -v[70:71]
	v_fma_f64 v[17:18], v[52:53], s[12:13], v[18:19]
	v_add_f64 v[19:20], v[30:31], v[162:163]
	v_add_f64 v[48:49], v[62:63], -v[82:83]
	v_add_f64 v[56:57], v[1:2], v[162:163]
	v_add_f64 v[50:51], v[34:35], -v[114:115]
	v_add_f64 v[80:81], v[158:159], -v[156:157]
	v_add_f64 v[3:4], v[11:12], v[58:59]
	v_add_f64 v[30:31], v[15:16], v[32:33]
	;; [unrolled: 1-line block ×3, first 2 shown]
	v_fma_f64 v[9:10], v[52:53], s[12:13], v[9:10]
	v_add_f64 v[11:12], v[58:59], -v[11:12]
	v_add_f64 v[13:14], v[17:18], v[19:20]
	v_add_f64 v[17:18], v[19:20], -v[17:18]
	v_add_f64 v[74:75], v[48:49], -v[46:47]
	;; [unrolled: 1-line block ×3, first 2 shown]
	v_add_f64 v[19:20], v[36:37], v[30:31]
	v_fma_f64 v[30:31], v[42:43], s[4:5], v[38:39]
	v_fma_f64 v[36:37], v[52:53], s[12:13], v[26:27]
	v_add_f64 v[28:29], v[32:33], -v[21:22]
	v_add_f64 v[32:33], v[21:22], v[32:33]
	v_add_f64 v[21:22], v[64:65], -v[76:77]
	v_add_f64 v[42:43], v[72:73], -v[68:69]
	;; [unrolled: 1-line block ×3, first 2 shown]
	v_add_f64 v[9:10], v[9:10], v[56:57]
	v_add_f64 v[52:53], v[128:129], -v[34:35]
	v_add_f64 v[56:57], v[136:137], -v[134:135]
	;; [unrolled: 1-line block ×3, first 2 shown]
	v_add_f64 v[30:31], v[30:31], v[162:163]
	v_add_f64 v[38:39], v[42:43], -v[21:22]
	v_add_f64 v[34:35], v[42:43], v[21:22]
	v_add_f64 v[21:22], v[21:22], -v[44:45]
	v_add_f64 v[72:73], v[44:45], -v[42:43]
	v_add_f64 v[26:27], v[36:37], v[30:31]
	v_add_f64 v[30:31], v[30:31], -v[36:37]
	v_add_f64 v[36:37], v[66:67], -v[78:79]
	;; [unrolled: 1-line block ×3, first 2 shown]
	v_mul_f64 v[66:67], v[38:39], s[18:19]
	v_add_f64 v[62:63], v[34:35], v[44:45]
	v_mul_f64 v[34:35], v[52:53], s[4:5]
	v_add_f64 v[58:59], v[46:47], -v[36:37]
	v_add_f64 v[40:41], v[46:47], v[36:37]
	v_add_f64 v[60:61], v[36:37], -v[48:49]
	v_mul_f64 v[36:37], v[56:57], s[4:5]
	v_fma_f64 v[38:39], v[21:22], s[14:15], -v[66:67]
	v_fma_f64 v[34:35], v[50:51], s[16:17], -v[34:35]
	v_mul_f64 v[21:22], v[21:22], s[14:15]
	v_mul_f64 v[58:59], v[58:59], s[18:19]
	v_add_f64 v[64:65], v[40:41], v[48:49]
	v_mul_f64 v[42:43], v[60:61], s[14:15]
	v_fma_f64 v[36:37], v[54:55], s[16:17], -v[36:37]
	v_fma_f64 v[40:41], v[62:63], s[12:13], v[38:39]
	v_add_f64 v[68:69], v[34:35], v[168:169]
	v_fma_f64 v[21:22], v[72:73], s[26:27], -v[21:22]
	v_fma_f64 v[38:39], v[60:61], s[14:15], -v[58:59]
	;; [unrolled: 1-line block ×3, first 2 shown]
	v_add_f64 v[70:71], v[36:37], v[138:139]
	v_fma_f64 v[21:22], v[62:63], s[12:13], v[21:22]
	v_fma_f64 v[38:39], v[64:65], s[12:13], v[38:39]
	;; [unrolled: 1-line block ×3, first 2 shown]
	v_add_f64 v[36:37], v[40:41], v[70:71]
	v_add_f64 v[40:41], v[70:71], -v[40:41]
	v_add_f64 v[70:71], v[130:131], -v[136:137]
	;; [unrolled: 1-line block ×3, first 2 shown]
	v_add_f64 v[38:39], v[38:39], v[68:69]
	v_add_f64 v[68:69], v[114:115], -v[128:129]
	v_mul_f64 v[60:61], v[68:69], s[22:23]
	v_mul_f64 v[68:69], v[70:71], s[22:23]
	v_add_f64 v[70:71], v[98:99], -v[94:95]
	v_fma_f64 v[94:95], v[160:161], s[0:1], v[7:8]
	v_fma_f64 v[44:45], v[50:51], s[24:25], -v[60:61]
	v_fma_f64 v[46:47], v[54:55], s[24:25], -v[68:69]
	v_fma_f64 v[52:53], v[52:53], s[4:5], v[60:61]
	v_add_f64 v[50:51], v[44:45], v[168:169]
	v_add_f64 v[54:55], v[46:47], v[138:139]
	;; [unrolled: 1-line block ×3, first 2 shown]
	v_add_f64 v[44:45], v[54:55], -v[21:22]
	v_add_f64 v[46:47], v[50:51], -v[48:49]
	v_add_f64 v[48:49], v[21:22], v[54:55]
	v_fma_f64 v[21:22], v[72:73], s[20:21], v[66:67]
	v_fma_f64 v[50:51], v[74:75], s[20:21], v[58:59]
	;; [unrolled: 1-line block ×3, first 2 shown]
	v_add_f64 v[58:59], v[52:53], v[168:169]
	v_add_f64 v[66:67], v[96:97], -v[92:93]
	v_add_f64 v[68:69], v[84:85], -v[108:109]
	;; [unrolled: 1-line block ×4, first 2 shown]
	v_fma_f64 v[92:93], v[152:153], s[0:1], v[5:6]
	v_fma_f64 v[21:22], v[62:63], s[12:13], v[21:22]
	;; [unrolled: 1-line block ×3, first 2 shown]
	v_add_f64 v[60:61], v[54:55], v[138:139]
	v_add_f64 v[50:51], v[56:57], v[58:59]
	v_add_f64 v[52:53], v[60:61], -v[21:22]
	v_add_f64 v[54:55], v[58:59], -v[56:57]
	v_add_f64 v[56:57], v[21:22], v[60:61]
	v_add_f64 v[21:22], v[88:89], -v[100:101]
	v_add_f64 v[58:59], v[90:91], -v[102:103]
	;; [unrolled: 1-line block ×4, first 2 shown]
	ds_write_b128 v132, v[26:29] offset:1456
	ds_write_b128 v132, v[13:16] offset:2912
	;; [unrolled: 1-line block ×12, first 2 shown]
	v_add_f64 v[62:63], v[66:67], -v[21:22]
	v_add_f64 v[60:61], v[66:67], v[21:22]
	v_add_f64 v[21:22], v[21:22], -v[68:69]
	v_add_f64 v[82:83], v[70:71], -v[58:59]
	v_add_f64 v[64:65], v[70:71], v[58:59]
	v_add_f64 v[84:85], v[58:59], -v[72:73]
	v_mul_f64 v[58:59], v[76:77], s[4:5]
	v_mul_f64 v[90:91], v[62:63], s[18:19]
	v_add_f64 v[86:87], v[60:61], v[68:69]
	v_mul_f64 v[60:61], v[80:81], s[4:5]
	v_mul_f64 v[82:83], v[82:83], s[18:19]
	v_add_f64 v[88:89], v[64:65], v[72:73]
	v_mul_f64 v[66:67], v[84:85], s[14:15]
	v_fma_f64 v[58:59], v[74:75], s[16:17], -v[58:59]
	v_fma_f64 v[62:63], v[21:22], s[14:15], -v[90:91]
	v_mul_f64 v[21:22], v[21:22], s[14:15]
	v_fma_f64 v[60:61], v[78:79], s[16:17], -v[60:61]
	v_fma_f64 v[66:67], v[102:103], s[26:27], -v[66:67]
	v_add_f64 v[96:97], v[58:59], v[92:93]
	v_fma_f64 v[64:65], v[86:87], s[12:13], v[62:63]
	v_fma_f64 v[62:63], v[84:85], s[14:15], -v[82:83]
	v_add_f64 v[98:99], v[60:61], v[94:95]
	v_fma_f64 v[21:22], v[100:101], s[26:27], -v[21:22]
	v_fma_f64 v[72:73], v[88:89], s[12:13], v[66:67]
	v_fma_f64 v[62:63], v[88:89], s[12:13], v[62:63]
	v_add_f64 v[60:61], v[64:65], v[98:99]
	v_add_f64 v[64:65], v[98:99], -v[64:65]
	v_add_f64 v[98:99], v[154:155], -v[158:159]
	v_fma_f64 v[21:22], v[86:87], s[12:13], v[21:22]
	v_add_f64 v[58:59], v[96:97], -v[62:63]
	v_add_f64 v[62:63], v[62:63], v[96:97]
	v_add_f64 v[96:97], v[140:141], -v[144:145]
	v_mul_f64 v[84:85], v[96:97], s[22:23]
	v_mul_f64 v[96:97], v[98:99], s[22:23]
	v_fma_f64 v[68:69], v[74:75], s[24:25], -v[84:85]
	v_fma_f64 v[70:71], v[78:79], s[24:25], -v[96:97]
	v_fma_f64 v[76:77], v[76:77], s[4:5], v[84:85]
	v_add_f64 v[74:75], v[68:69], v[92:93]
	v_add_f64 v[78:79], v[70:71], v[94:95]
	;; [unrolled: 1-line block ×4, first 2 shown]
	v_add_f64 v[68:69], v[78:79], -v[21:22]
	v_add_f64 v[70:71], v[74:75], -v[72:73]
	v_add_f64 v[72:73], v[21:22], v[78:79]
	v_fma_f64 v[21:22], v[100:101], s[20:21], v[90:91]
	v_fma_f64 v[74:75], v[102:103], s[20:21], v[82:83]
	;; [unrolled: 1-line block ×5, first 2 shown]
	v_add_f64 v[78:79], v[78:79], v[94:95]
	v_add_f64 v[128:129], v[76:77], -v[74:75]
	v_add_f64 v[130:131], v[21:22], v[78:79]
	v_add_f64 v[80:81], v[74:75], v[76:77]
	v_add_f64 v[82:83], v[78:79], -v[21:22]
	ds_write_b128 v0, v[5:8] offset:20384
	ds_write_b128 v0, v[80:83] offset:21840
	ds_write_b128 v0, v[66:69] offset:23296
	ds_write_b128 v0, v[58:61] offset:24752
	ds_write_b128 v0, v[62:65] offset:26208
	ds_write_b128 v0, v[70:73] offset:27664
	buffer_store_dword v0, off, s[48:51], 0 offset:784 ; 4-byte Folded Spill
	ds_write_b128 v0, v[128:131] offset:29120
	v_lshlrev_b32_e32 v0, 5, v170
	s_waitcnt lgkmcnt(0)
	s_waitcnt_vscnt null, 0x0
	s_barrier
	buffer_gl0_inv
	v_add_co_u32 v3, s0, s2, v0
	v_add_co_ci_u32_e64 v4, null, s3, 0, s0
	v_add_co_u32 v1, s0, 0x2000, v3
	v_add_co_ci_u32_e64 v2, s0, 0, v4, s0
	v_add_co_u32 v3, s0, 0x2700, v3
	v_add_co_ci_u32_e64 v4, s0, 0, v4, s0
	s_clause 0x1
	global_load_dwordx4 v[7:10], v[1:2], off offset:1792
	global_load_dwordx4 v[19:22], v[3:4], off offset:16
	ds_read_b128 v[1:4], v132 offset:10192
	ds_read_b128 v[26:29], v132 offset:8736
	s_waitcnt vmcnt(1) lgkmcnt(1)
	v_mul_f64 v[5:6], v[3:4], v[9:10]
	v_fma_f64 v[13:14], v[1:2], v[7:8], -v[5:6]
	v_mul_f64 v[1:2], v[1:2], v[9:10]
	buffer_store_dword v7, off, s[48:51], 0 offset:556 ; 4-byte Folded Spill
	buffer_store_dword v8, off, s[48:51], 0 offset:560 ; 4-byte Folded Spill
	buffer_store_dword v9, off, s[48:51], 0 offset:564 ; 4-byte Folded Spill
	buffer_store_dword v10, off, s[48:51], 0 offset:568 ; 4-byte Folded Spill
	v_fma_f64 v[15:16], v[3:4], v[7:8], v[1:2]
	ds_read_b128 v[1:4], v132 offset:20384
	ds_read_b128 v[5:8], v132 offset:21840
	s_waitcnt vmcnt(0) lgkmcnt(1)
	v_mul_f64 v[9:10], v[3:4], v[21:22]
	v_fma_f64 v[17:18], v[1:2], v[19:20], -v[9:10]
	v_mul_f64 v[1:2], v[1:2], v[21:22]
	buffer_store_dword v19, off, s[48:51], 0 offset:540 ; 4-byte Folded Spill
	buffer_store_dword v20, off, s[48:51], 0 offset:544 ; 4-byte Folded Spill
	;; [unrolled: 1-line block ×4, first 2 shown]
	v_fma_f64 v[19:20], v[3:4], v[19:20], v[1:2]
	v_lshlrev_b32_e32 v1, 5, v24
	v_add_co_u32 v3, s0, s2, v1
	v_add_co_ci_u32_e64 v4, null, s3, 0, s0
	v_add_co_u32 v1, s0, 0x2000, v3
	v_add_co_ci_u32_e64 v2, s0, 0, v4, s0
	v_add_co_u32 v3, s0, 0x2700, v3
	v_add_co_ci_u32_e64 v4, s0, 0, v4, s0
	s_clause 0x1
	global_load_dwordx4 v[34:37], v[1:2], off offset:1792
	global_load_dwordx4 v[30:33], v[3:4], off offset:16
	ds_read_b128 v[1:4], v132 offset:11648
	ds_read_b128 v[9:12], v132 offset:13104
	s_waitcnt vmcnt(1) lgkmcnt(1)
	v_mul_f64 v[21:22], v[3:4], v[36:37]
	v_fma_f64 v[21:22], v[1:2], v[34:35], -v[21:22]
	v_mul_f64 v[1:2], v[1:2], v[36:37]
	buffer_store_dword v34, off, s[48:51], 0 offset:608 ; 4-byte Folded Spill
	buffer_store_dword v35, off, s[48:51], 0 offset:612 ; 4-byte Folded Spill
	;; [unrolled: 1-line block ×4, first 2 shown]
	v_fma_f64 v[23:24], v[3:4], v[34:35], v[1:2]
	s_waitcnt vmcnt(0)
	v_mul_f64 v[1:2], v[7:8], v[32:33]
	v_fma_f64 v[46:47], v[5:6], v[30:31], -v[1:2]
	v_mul_f64 v[1:2], v[5:6], v[32:33]
	buffer_store_dword v30, off, s[48:51], 0 offset:592 ; 4-byte Folded Spill
	buffer_store_dword v31, off, s[48:51], 0 offset:596 ; 4-byte Folded Spill
	;; [unrolled: 1-line block ×4, first 2 shown]
	v_fma_f64 v[42:43], v[7:8], v[30:31], v[1:2]
	v_lshlrev_b32_e32 v1, 5, v25
	v_add_co_u32 v3, s0, s2, v1
	v_add_co_ci_u32_e64 v4, null, s3, 0, s0
	v_add_co_u32 v1, s0, 0x2000, v3
	v_add_co_ci_u32_e64 v2, s0, 0, v4, s0
	v_add_co_u32 v3, s0, 0x2700, v3
	v_add_co_ci_u32_e64 v4, s0, 0, v4, s0
	s_clause 0x1
	global_load_dwordx4 v[5:8], v[1:2], off offset:1792
	global_load_dwordx4 v[30:33], v[3:4], off offset:16
	s_waitcnt vmcnt(1) lgkmcnt(0)
	v_mul_f64 v[1:2], v[11:12], v[7:8]
	v_fma_f64 v[58:59], v[9:10], v[5:6], -v[1:2]
	v_mul_f64 v[1:2], v[9:10], v[7:8]
	buffer_store_dword v5, off, s[48:51], 0 offset:640 ; 4-byte Folded Spill
	buffer_store_dword v6, off, s[48:51], 0 offset:644 ; 4-byte Folded Spill
	;; [unrolled: 1-line block ×4, first 2 shown]
	v_fma_f64 v[54:55], v[11:12], v[5:6], v[1:2]
	ds_read_b128 v[1:4], v132 offset:23296
	ds_read_b128 v[5:8], v132 offset:24752
	s_waitcnt vmcnt(0) lgkmcnt(1)
	v_mul_f64 v[9:10], v[3:4], v[32:33]
	v_fma_f64 v[60:61], v[1:2], v[30:31], -v[9:10]
	v_mul_f64 v[1:2], v[1:2], v[32:33]
	buffer_store_dword v30, off, s[48:51], 0 offset:624 ; 4-byte Folded Spill
	buffer_store_dword v31, off, s[48:51], 0 offset:628 ; 4-byte Folded Spill
	;; [unrolled: 1-line block ×4, first 2 shown]
	v_fma_f64 v[56:57], v[3:4], v[30:31], v[1:2]
	v_add_nc_u32_e32 v1, 0x2220, v0
	v_add_co_u32 v3, s0, s2, v1
	v_add_co_ci_u32_e64 v4, null, s3, 0, s0
	v_add_co_u32 v1, s0, 0x2000, v3
	v_add_co_ci_u32_e64 v2, s0, 0, v4, s0
	v_add_co_u32 v3, s0, 0x2700, v3
	v_add_co_ci_u32_e64 v4, s0, 0, v4, s0
	s_clause 0x1
	global_load_dwordx4 v[36:39], v[1:2], off offset:1792
	global_load_dwordx4 v[32:35], v[3:4], off offset:16
	ds_read_b128 v[1:4], v132 offset:14560
	ds_read_b128 v[9:12], v132 offset:16016
	s_waitcnt vmcnt(1) lgkmcnt(1)
	v_mul_f64 v[30:31], v[3:4], v[38:39]
	v_fma_f64 v[70:71], v[1:2], v[36:37], -v[30:31]
	v_mul_f64 v[1:2], v[1:2], v[38:39]
	buffer_store_dword v36, off, s[48:51], 0 offset:672 ; 4-byte Folded Spill
	buffer_store_dword v37, off, s[48:51], 0 offset:676 ; 4-byte Folded Spill
	;; [unrolled: 1-line block ×4, first 2 shown]
	v_fma_f64 v[66:67], v[3:4], v[36:37], v[1:2]
	s_waitcnt vmcnt(0)
	v_mul_f64 v[1:2], v[7:8], v[34:35]
	v_fma_f64 v[72:73], v[5:6], v[32:33], -v[1:2]
	v_mul_f64 v[1:2], v[5:6], v[34:35]
	buffer_store_dword v32, off, s[48:51], 0 offset:656 ; 4-byte Folded Spill
	buffer_store_dword v33, off, s[48:51], 0 offset:660 ; 4-byte Folded Spill
	buffer_store_dword v34, off, s[48:51], 0 offset:664 ; 4-byte Folded Spill
	buffer_store_dword v35, off, s[48:51], 0 offset:668 ; 4-byte Folded Spill
	v_fma_f64 v[68:69], v[7:8], v[32:33], v[1:2]
	v_add_nc_u32_e32 v1, 0x2d80, v0
	v_add_co_u32 v3, s0, s2, v1
	v_add_co_ci_u32_e64 v4, null, s3, 0, s0
	v_add_co_u32 v1, s0, 0x2000, v3
	v_add_co_ci_u32_e64 v2, s0, 0, v4, s0
	v_add_co_u32 v3, s0, 0x2700, v3
	v_add_co_ci_u32_e64 v4, s0, 0, v4, s0
	s_clause 0x1
	global_load_dwordx4 v[5:8], v[1:2], off offset:1792
	global_load_dwordx4 v[30:33], v[3:4], off offset:16
	s_waitcnt vmcnt(1) lgkmcnt(0)
	v_mul_f64 v[1:2], v[11:12], v[7:8]
	v_fma_f64 v[74:75], v[9:10], v[5:6], -v[1:2]
	v_mul_f64 v[1:2], v[9:10], v[7:8]
	buffer_store_dword v5, off, s[48:51], 0 offset:704 ; 4-byte Folded Spill
	buffer_store_dword v6, off, s[48:51], 0 offset:708 ; 4-byte Folded Spill
	;; [unrolled: 1-line block ×4, first 2 shown]
	v_fma_f64 v[76:77], v[11:12], v[5:6], v[1:2]
	ds_read_b128 v[1:4], v132 offset:26208
	ds_read_b128 v[5:8], v132 offset:27664
	s_waitcnt vmcnt(0) lgkmcnt(1)
	v_mul_f64 v[9:10], v[3:4], v[32:33]
	v_fma_f64 v[78:79], v[1:2], v[30:31], -v[9:10]
	v_mul_f64 v[1:2], v[1:2], v[32:33]
	buffer_store_dword v30, off, s[48:51], 0 offset:688 ; 4-byte Folded Spill
	buffer_store_dword v31, off, s[48:51], 0 offset:692 ; 4-byte Folded Spill
	;; [unrolled: 1-line block ×4, first 2 shown]
	v_fma_f64 v[80:81], v[3:4], v[30:31], v[1:2]
	v_add_nc_u32_e32 v1, 0x38e0, v0
	v_add_nc_u32_e32 v0, 0x4440, v0
	v_add_co_u32 v3, s0, s2, v1
	v_add_co_ci_u32_e64 v4, null, s3, 0, s0
	v_add_co_u32 v1, s0, 0x2000, v3
	v_add_co_ci_u32_e64 v2, s0, 0, v4, s0
	v_add_co_u32 v3, s0, 0x2700, v3
	v_add_co_ci_u32_e64 v4, s0, 0, v4, s0
	s_clause 0x1
	global_load_dwordx4 v[36:39], v[1:2], off offset:1792
	global_load_dwordx4 v[32:35], v[3:4], off offset:16
	ds_read_b128 v[1:4], v132 offset:17472
	ds_read_b128 v[9:12], v132 offset:18928
	s_waitcnt vmcnt(1) lgkmcnt(1)
	v_mul_f64 v[30:31], v[3:4], v[38:39]
	v_fma_f64 v[82:83], v[1:2], v[36:37], -v[30:31]
	v_mul_f64 v[1:2], v[1:2], v[38:39]
	buffer_store_dword v36, off, s[48:51], 0 offset:736 ; 4-byte Folded Spill
	buffer_store_dword v37, off, s[48:51], 0 offset:740 ; 4-byte Folded Spill
	buffer_store_dword v38, off, s[48:51], 0 offset:744 ; 4-byte Folded Spill
	buffer_store_dword v39, off, s[48:51], 0 offset:748 ; 4-byte Folded Spill
	v_fma_f64 v[92:93], v[3:4], v[36:37], v[1:2]
	s_waitcnt vmcnt(0)
	v_mul_f64 v[1:2], v[7:8], v[34:35]
	v_fma_f64 v[94:95], v[5:6], v[32:33], -v[1:2]
	v_mul_f64 v[1:2], v[5:6], v[34:35]
	buffer_store_dword v32, off, s[48:51], 0 offset:720 ; 4-byte Folded Spill
	buffer_store_dword v33, off, s[48:51], 0 offset:724 ; 4-byte Folded Spill
	;; [unrolled: 1-line block ×4, first 2 shown]
	v_fma_f64 v[96:97], v[7:8], v[32:33], v[1:2]
	v_add_co_u32 v2, s0, s2, v0
	v_add_co_ci_u32_e64 v3, null, s3, 0, s0
	s_mov_b32 s3, 0xbfebb67a
	v_add_co_u32 v0, s0, 0x2000, v2
	v_add_co_ci_u32_e64 v1, s0, 0, v3, s0
	v_add_co_u32 v2, s0, 0x2700, v2
	v_add_co_ci_u32_e64 v3, s0, 0, v3, s0
	s_clause 0x1
	global_load_dwordx4 v[4:7], v[0:1], off offset:1792
	global_load_dwordx4 v[30:33], v[2:3], off offset:16
	s_mov_b32 s0, 0xe8584caa
	s_mov_b32 s1, 0x3febb67a
	;; [unrolled: 1-line block ×3, first 2 shown]
	s_waitcnt vmcnt(1) lgkmcnt(0)
	v_mul_f64 v[0:1], v[11:12], v[6:7]
	v_fma_f64 v[98:99], v[9:10], v[4:5], -v[0:1]
	v_mul_f64 v[0:1], v[9:10], v[6:7]
	buffer_store_dword v4, off, s[48:51], 0 offset:768 ; 4-byte Folded Spill
	buffer_store_dword v5, off, s[48:51], 0 offset:772 ; 4-byte Folded Spill
	;; [unrolled: 1-line block ×4, first 2 shown]
	v_add_f64 v[8:9], v[13:14], v[17:18]
	v_fma_f64 v[100:101], v[11:12], v[4:5], v[0:1]
	ds_read_b128 v[0:3], v132 offset:29120
	v_add_f64 v[10:11], v[15:16], v[19:20]
	s_waitcnt vmcnt(0) lgkmcnt(0)
	v_mul_f64 v[4:5], v[2:3], v[32:33]
	v_fma_f64 v[102:103], v[0:1], v[30:31], -v[4:5]
	v_mul_f64 v[0:1], v[0:1], v[32:33]
	buffer_store_dword v30, off, s[48:51], 0 offset:752 ; 4-byte Folded Spill
	buffer_store_dword v31, off, s[48:51], 0 offset:756 ; 4-byte Folded Spill
	;; [unrolled: 1-line block ×4, first 2 shown]
	v_fma_f64 v[108:109], v[2:3], v[30:31], v[0:1]
	ds_read_b128 v[0:3], v132
	ds_read_b128 v[4:7], v132 offset:1456
	s_waitcnt lgkmcnt(1)
	v_fma_f64 v[8:9], v[8:9], -0.5, v[0:1]
	v_add_f64 v[0:1], v[0:1], v[13:14]
	v_fma_f64 v[10:11], v[10:11], -0.5, v[2:3]
	v_add_f64 v[2:3], v[2:3], v[15:16]
	v_add_f64 v[15:16], v[15:16], -v[19:20]
	v_add_f64 v[30:31], v[0:1], v[17:18]
	v_add_f64 v[0:1], v[13:14], -v[17:18]
	v_add_f64 v[32:33], v[2:3], v[19:20]
	v_add_f64 v[2:3], v[23:24], v[42:43]
	v_fma_f64 v[34:35], v[15:16], s[0:1], v[8:9]
	v_fma_f64 v[38:39], v[15:16], s[2:3], v[8:9]
	v_add_f64 v[8:9], v[23:24], -v[42:43]
	v_add_f64 v[12:13], v[54:55], -v[56:57]
	v_fma_f64 v[36:37], v[0:1], s[2:3], v[10:11]
	v_fma_f64 v[40:41], v[0:1], s[0:1], v[10:11]
	v_add_f64 v[0:1], v[21:22], v[46:47]
	s_waitcnt lgkmcnt(0)
	v_fma_f64 v[2:3], v[2:3], -0.5, v[6:7]
	v_add_f64 v[6:7], v[6:7], v[23:24]
	v_add_f64 v[10:11], v[54:55], v[56:57]
	v_fma_f64 v[0:1], v[0:1], -0.5, v[4:5]
	v_add_f64 v[4:5], v[4:5], v[21:22]
	v_add_f64 v[44:45], v[6:7], v[42:43]
	v_fma_f64 v[50:51], v[8:9], s[2:3], v[0:1]
	v_add_f64 v[42:43], v[4:5], v[46:47]
	v_add_f64 v[4:5], v[21:22], -v[46:47]
	v_fma_f64 v[46:47], v[8:9], s[0:1], v[0:1]
	v_add_f64 v[8:9], v[58:59], v[60:61]
	v_fma_f64 v[48:49], v[4:5], s[2:3], v[2:3]
	v_fma_f64 v[52:53], v[4:5], s[0:1], v[2:3]
	ds_read_b128 v[0:3], v132 offset:2912
	ds_read_b128 v[4:7], v132 offset:4368
	s_waitcnt lgkmcnt(1)
	v_fma_f64 v[8:9], v[8:9], -0.5, v[0:1]
	v_add_f64 v[0:1], v[0:1], v[58:59]
	v_fma_f64 v[10:11], v[10:11], -0.5, v[2:3]
	v_add_f64 v[2:3], v[2:3], v[54:55]
	v_fma_f64 v[62:63], v[12:13], s[2:3], v[8:9]
	v_add_f64 v[54:55], v[0:1], v[60:61]
	v_add_f64 v[0:1], v[58:59], -v[60:61]
	v_add_f64 v[56:57], v[2:3], v[56:57]
	v_add_f64 v[2:3], v[66:67], v[68:69]
	v_fma_f64 v[58:59], v[12:13], s[0:1], v[8:9]
	v_add_f64 v[8:9], v[66:67], -v[68:69]
	v_add_f64 v[12:13], v[76:77], -v[80:81]
	v_fma_f64 v[60:61], v[0:1], s[2:3], v[10:11]
	v_fma_f64 v[64:65], v[0:1], s[0:1], v[10:11]
	v_add_f64 v[0:1], v[70:71], v[72:73]
	s_waitcnt lgkmcnt(0)
	v_fma_f64 v[2:3], v[2:3], -0.5, v[6:7]
	v_add_f64 v[6:7], v[6:7], v[66:67]
	v_add_f64 v[10:11], v[76:77], v[80:81]
	v_fma_f64 v[0:1], v[0:1], -0.5, v[4:5]
	v_add_f64 v[4:5], v[4:5], v[70:71]
	v_add_f64 v[68:69], v[6:7], v[68:69]
	v_fma_f64 v[84:85], v[8:9], s[2:3], v[0:1]
	v_add_f64 v[66:67], v[4:5], v[72:73]
	v_add_f64 v[4:5], v[70:71], -v[72:73]
	v_fma_f64 v[70:71], v[8:9], s[0:1], v[0:1]
	v_add_f64 v[8:9], v[74:75], v[78:79]
	v_fma_f64 v[72:73], v[4:5], s[2:3], v[2:3]
	v_fma_f64 v[86:87], v[4:5], s[0:1], v[2:3]
	ds_read_b128 v[0:3], v132 offset:5824
	ds_read_b128 v[4:7], v132 offset:7280
	s_waitcnt lgkmcnt(1)
	v_fma_f64 v[8:9], v[8:9], -0.5, v[0:1]
	v_add_f64 v[0:1], v[0:1], v[74:75]
	v_fma_f64 v[10:11], v[10:11], -0.5, v[2:3]
	v_add_f64 v[2:3], v[2:3], v[76:77]
	v_fma_f64 v[248:249], v[12:13], s[0:1], v[8:9]
	v_add_f64 v[88:89], v[0:1], v[78:79]
	v_add_f64 v[0:1], v[74:75], -v[78:79]
	v_add_f64 v[90:91], v[2:3], v[80:81]
	v_fma_f64 v[20:21], v[12:13], s[2:3], v[8:9]
	v_add_f64 v[2:3], v[92:93], v[96:97]
	v_add_f64 v[8:9], v[92:93], -v[96:97]
	ds_write_b128 v132, v[30:33]
	ds_write_b128 v132, v[42:45] offset:1456
	ds_write_b128 v132, v[54:57] offset:2912
	;; [unrolled: 1-line block ×12, first 2 shown]
	v_fma_f64 v[250:251], v[0:1], s[2:3], v[10:11]
	v_fma_f64 v[22:23], v[0:1], s[0:1], v[10:11]
	v_add_f64 v[0:1], v[82:83], v[94:95]
	s_waitcnt lgkmcnt(13)
	v_fma_f64 v[2:3], v[2:3], -0.5, v[6:7]
	v_add_f64 v[6:7], v[6:7], v[92:93]
	v_fma_f64 v[0:1], v[0:1], -0.5, v[4:5]
	v_add_f64 v[4:5], v[4:5], v[82:83]
	v_add_f64 v[18:19], v[6:7], v[96:97]
	v_fma_f64 v[12:13], v[8:9], s[0:1], v[0:1]
	v_add_f64 v[16:17], v[4:5], v[94:95]
	v_add_f64 v[4:5], v[82:83], -v[94:95]
	v_fma_f64 v[8:9], v[8:9], s[2:3], v[0:1]
	v_add_f64 v[0:1], v[98:99], v[102:103]
	v_fma_f64 v[14:15], v[4:5], s[2:3], v[2:3]
	v_fma_f64 v[10:11], v[4:5], s[0:1], v[2:3]
	v_fma_f64 v[2:3], v[0:1], -0.5, v[26:27]
	v_add_f64 v[0:1], v[100:101], v[108:109]
	v_add_f64 v[4:5], v[26:27], v[98:99]
	v_add_f64 v[26:27], v[100:101], -v[108:109]
	v_fma_f64 v[24:25], v[0:1], -0.5, v[28:29]
	v_add_f64 v[0:1], v[28:29], v[100:101]
	v_add_f64 v[28:29], v[98:99], -v[102:103]
	v_add_f64 v[4:5], v[4:5], v[102:103]
	v_fma_f64 v[252:253], v[26:27], s[2:3], v[2:3]
	v_add_f64 v[6:7], v[0:1], v[108:109]
	v_fma_f64 v[0:1], v[26:27], s[0:1], v[2:3]
	v_fma_f64 v[2:3], v[28:29], s[2:3], v[24:25]
	;; [unrolled: 1-line block ×3, first 2 shown]
	v_add_co_u32 v190, s0, 0x7000, v112
	v_add_co_ci_u32_e64 v191, s0, 0, v113, s0
	ds_write_b128 v132, v[16:19] offset:7280
	ds_write_b128 v132, v[4:7] offset:8736
	;; [unrolled: 1-line block ×8, first 2 shown]
	s_waitcnt lgkmcnt(0)
	s_waitcnt_vscnt null, 0x0
	s_barrier
	buffer_gl0_inv
	global_load_dwordx4 v[24:27], v[190:191], off offset:1904
	ds_read_b128 v[28:31], v132
	ds_read_b128 v[32:35], v132 offset:2352
	s_waitcnt vmcnt(0) lgkmcnt(1)
	v_mul_f64 v[36:37], v[30:31], v[26:27]
	v_mul_f64 v[38:39], v[28:29], v[26:27]
	v_fma_f64 v[26:27], v[28:29], v[24:25], -v[36:37]
	v_fma_f64 v[28:29], v[30:31], v[24:25], v[38:39]
	v_add_co_u32 v24, s0, 0x8000, v112
	v_add_co_ci_u32_e64 v25, s0, 0, v113, s0
	v_add_co_u32 v30, s0, 0x8800, v112
	v_add_co_ci_u32_e64 v31, s0, 0, v113, s0
	s_clause 0x1
	global_load_dwordx4 v[36:39], v[24:25], off offset:160
	global_load_dwordx4 v[40:43], v[30:31], off offset:464
	s_waitcnt vmcnt(1) lgkmcnt(0)
	v_mul_f64 v[24:25], v[34:35], v[38:39]
	v_mul_f64 v[38:39], v[32:33], v[38:39]
	v_fma_f64 v[30:31], v[32:33], v[36:37], -v[24:25]
	v_fma_f64 v[32:33], v[34:35], v[36:37], v[38:39]
	ds_read_b128 v[34:37], v132 offset:4704
	ds_read_b128 v[44:47], v132 offset:7056
	s_waitcnt vmcnt(0) lgkmcnt(1)
	v_mul_f64 v[24:25], v[36:37], v[42:43]
	v_mul_f64 v[38:39], v[34:35], v[42:43]
	v_fma_f64 v[34:35], v[34:35], v[40:41], -v[24:25]
	v_add_co_u32 v24, s0, 0x9000, v112
	v_add_co_ci_u32_e64 v25, s0, 0, v113, s0
	v_add_co_u32 v42, s0, 0x9800, v112
	v_add_co_ci_u32_e64 v43, s0, 0, v113, s0
	v_fma_f64 v[36:37], v[36:37], v[40:41], v[38:39]
	s_clause 0x1
	global_load_dwordx4 v[38:41], v[24:25], off offset:768
	global_load_dwordx4 v[48:51], v[42:43], off offset:1072
	s_waitcnt vmcnt(1) lgkmcnt(0)
	v_mul_f64 v[24:25], v[46:47], v[40:41]
	v_mul_f64 v[42:43], v[44:45], v[40:41]
	v_fma_f64 v[40:41], v[44:45], v[38:39], -v[24:25]
	v_fma_f64 v[42:43], v[46:47], v[38:39], v[42:43]
	ds_read_b128 v[44:47], v132 offset:9408
	ds_read_b128 v[52:55], v132 offset:11760
	s_waitcnt vmcnt(0) lgkmcnt(1)
	v_mul_f64 v[24:25], v[46:47], v[50:51]
	v_mul_f64 v[38:39], v[44:45], v[50:51]
	v_fma_f64 v[44:45], v[44:45], v[48:49], -v[24:25]
	v_add_co_u32 v24, s0, 0xa000, v112
	v_add_co_ci_u32_e64 v25, s0, 0, v113, s0
	v_fma_f64 v[46:47], v[46:47], v[48:49], v[38:39]
	v_add_co_u32 v38, s0, 0xa800, v112
	v_add_co_ci_u32_e64 v39, s0, 0, v113, s0
	s_clause 0x1
	global_load_dwordx4 v[48:51], v[24:25], off offset:1376
	global_load_dwordx4 v[56:59], v[38:39], off offset:1680
	ds_read_b128 v[60:63], v132 offset:14112
	ds_read_b128 v[64:67], v132 offset:16464
	s_waitcnt vmcnt(1) lgkmcnt(2)
	v_mul_f64 v[24:25], v[54:55], v[50:51]
	v_mul_f64 v[38:39], v[52:53], v[50:51]
	v_fma_f64 v[50:51], v[52:53], v[48:49], -v[24:25]
	s_waitcnt vmcnt(0) lgkmcnt(1)
	v_mul_f64 v[24:25], v[62:63], v[58:59]
	v_fma_f64 v[52:53], v[54:55], v[48:49], v[38:39]
	v_mul_f64 v[38:39], v[60:61], v[58:59]
	v_fma_f64 v[54:55], v[60:61], v[56:57], -v[24:25]
	v_add_co_u32 v24, s0, 0xb000, v112
	v_add_co_ci_u32_e64 v25, s0, 0, v113, s0
	v_fma_f64 v[56:57], v[62:63], v[56:57], v[38:39]
	v_add_co_u32 v38, s0, 0xc000, v112
	v_add_co_ci_u32_e64 v39, s0, 0, v113, s0
	s_clause 0x1
	global_load_dwordx4 v[58:61], v[24:25], off offset:1984
	global_load_dwordx4 v[68:71], v[38:39], off offset:240
	s_waitcnt vmcnt(1) lgkmcnt(0)
	v_mul_f64 v[24:25], v[66:67], v[60:61]
	v_mul_f64 v[38:39], v[64:65], v[60:61]
	v_fma_f64 v[60:61], v[64:65], v[58:59], -v[24:25]
	v_fma_f64 v[62:63], v[66:67], v[58:59], v[38:39]
	ds_read_b128 v[64:67], v132 offset:18816
	ds_read_b128 v[72:75], v132 offset:21168
	s_waitcnt vmcnt(0) lgkmcnt(1)
	v_mul_f64 v[24:25], v[66:67], v[70:71]
	v_mul_f64 v[38:39], v[64:65], v[70:71]
	v_fma_f64 v[64:65], v[64:65], v[68:69], -v[24:25]
	v_add_co_u32 v24, s0, 0xc800, v112
	v_add_co_ci_u32_e64 v25, s0, 0, v113, s0
	v_fma_f64 v[66:67], v[66:67], v[68:69], v[38:39]
	v_add_co_u32 v38, s0, 0xd000, v112
	v_add_co_ci_u32_e64 v39, s0, 0, v113, s0
	s_clause 0x1
	global_load_dwordx4 v[68:71], v[24:25], off offset:544
	global_load_dwordx4 v[84:87], v[38:39], off offset:848
	ds_read_b128 v[88:91], v132 offset:23520
	ds_read_b128 v[92:95], v132 offset:25872
	s_waitcnt vmcnt(1) lgkmcnt(2)
	v_mul_f64 v[24:25], v[74:75], v[70:71]
	v_mul_f64 v[38:39], v[72:73], v[70:71]
	v_fma_f64 v[70:71], v[72:73], v[68:69], -v[24:25]
	s_waitcnt vmcnt(0) lgkmcnt(1)
	v_mul_f64 v[24:25], v[90:91], v[86:87]
	v_fma_f64 v[72:73], v[74:75], v[68:69], v[38:39]
	v_mul_f64 v[38:39], v[88:89], v[86:87]
	v_fma_f64 v[86:87], v[88:89], v[84:85], -v[24:25]
	v_add_co_u32 v24, s0, 0xd800, v112
	v_add_co_ci_u32_e64 v25, s0, 0, v113, s0
	v_fma_f64 v[88:89], v[90:91], v[84:85], v[38:39]
	v_add_co_u32 v38, s0, 0xe000, v112
	v_add_co_ci_u32_e64 v39, s0, 0, v113, s0
	s_clause 0x1
	global_load_dwordx4 v[96:99], v[24:25], off offset:1152
	global_load_dwordx4 v[100:103], v[38:39], off offset:1456
	s_waitcnt vmcnt(1) lgkmcnt(0)
	v_mul_f64 v[24:25], v[94:95], v[98:99]
	v_mul_f64 v[38:39], v[92:93], v[98:99]
	v_fma_f64 v[90:91], v[92:93], v[96:97], -v[24:25]
	v_fma_f64 v[92:93], v[94:95], v[96:97], v[38:39]
	ds_read_b128 v[94:97], v132 offset:28224
	s_waitcnt vmcnt(0) lgkmcnt(0)
	v_mul_f64 v[24:25], v[96:97], v[102:103]
	v_mul_f64 v[38:39], v[94:95], v[102:103]
	v_fma_f64 v[94:95], v[94:95], v[100:101], -v[24:25]
	v_fma_f64 v[96:97], v[96:97], v[100:101], v[38:39]
	ds_write_b128 v132, v[26:29]
	ds_write_b128 v132, v[30:33] offset:2352
	ds_write_b128 v132, v[34:37] offset:4704
	ds_write_b128 v132, v[40:43] offset:7056
	ds_write_b128 v132, v[44:47] offset:9408
	ds_write_b128 v132, v[50:53] offset:11760
	ds_write_b128 v132, v[54:57] offset:14112
	ds_write_b128 v132, v[60:63] offset:16464
	ds_write_b128 v132, v[64:67] offset:18816
	ds_write_b128 v132, v[70:73] offset:21168
	ds_write_b128 v132, v[86:89] offset:23520
	ds_write_b128 v132, v[90:93] offset:25872
	ds_write_b128 v132, v[94:97] offset:28224
	s_and_saveexec_b32 s1, vcc_lo
	s_cbranch_execz .LBB0_9
; %bb.8:
	v_add_co_u32 v68, s0, 0x7770, v112
	v_add_co_ci_u32_e64 v69, s0, 0, v113, s0
	v_add_co_u32 v28, s0, 0x800, v68
	v_add_co_ci_u32_e64 v29, s0, 0, v69, s0
	;; [unrolled: 2-line block ×4, first 2 shown]
	s_clause 0x3
	global_load_dwordx4 v[24:27], v[68:69], off offset:1456
	global_load_dwordx4 v[28:31], v[28:29], off offset:1760
	;; [unrolled: 1-line block ×4, first 2 shown]
	v_add_co_u32 v40, s0, 0x2800, v68
	v_add_co_ci_u32_e64 v41, s0, 0, v69, s0
	v_add_co_u32 v44, s0, 0x3000, v68
	v_add_co_ci_u32_e64 v45, s0, 0, v69, s0
	;; [unrolled: 2-line block ×3, first 2 shown]
	global_load_dwordx4 v[40:43], v[40:41], off offset:624
	v_add_co_u32 v52, s0, 0x4000, v68
	v_add_co_ci_u32_e64 v53, s0, 0, v69, s0
	v_add_co_u32 v56, s0, 0x4800, v68
	v_add_co_ci_u32_e64 v57, s0, 0, v69, s0
	;; [unrolled: 2-line block ×6, first 2 shown]
	s_clause 0x7
	global_load_dwordx4 v[44:47], v[44:45], off offset:928
	global_load_dwordx4 v[48:51], v[48:49], off offset:1232
	;; [unrolled: 1-line block ×8, first 2 shown]
	ds_read_b128 v[84:87], v132 offset:1456
	ds_read_b128 v[88:91], v132 offset:3808
	;; [unrolled: 1-line block ×12, first 2 shown]
	s_waitcnt vmcnt(12) lgkmcnt(11)
	v_mul_f64 v[114:115], v[86:87], v[26:27]
	v_mul_f64 v[26:27], v[84:85], v[26:27]
	s_waitcnt vmcnt(11) lgkmcnt(10)
	v_mul_f64 v[146:147], v[90:91], v[30:31]
	v_mul_f64 v[30:31], v[88:89], v[30:31]
	;; [unrolled: 3-line block ×5, first 2 shown]
	v_fma_f64 v[84:85], v[84:85], v[24:25], -v[114:115]
	v_fma_f64 v[86:87], v[86:87], v[24:25], v[26:27]
	ds_read_b128 v[24:27], v132 offset:29680
	v_fma_f64 v[88:89], v[88:89], v[28:29], -v[146:147]
	v_fma_f64 v[90:91], v[90:91], v[28:29], v[30:31]
	v_fma_f64 v[28:29], v[92:93], v[32:33], -v[152:153]
	v_fma_f64 v[30:31], v[94:95], v[32:33], v[34:35]
	;; [unrolled: 2-line block ×3, first 2 shown]
	s_waitcnt vmcnt(7) lgkmcnt(7)
	v_mul_f64 v[114:115], v[110:111], v[46:47]
	v_mul_f64 v[46:47], v[108:109], v[46:47]
	s_waitcnt vmcnt(6) lgkmcnt(6)
	v_mul_f64 v[146:147], v[78:79], v[50:51]
	v_mul_f64 v[50:51], v[76:77], v[50:51]
	;; [unrolled: 3-line block ×7, first 2 shown]
	v_fma_f64 v[36:37], v[100:101], v[40:41], -v[156:157]
	s_waitcnt vmcnt(0) lgkmcnt(0)
	v_mul_f64 v[100:101], v[26:27], v[74:75]
	v_mul_f64 v[74:75], v[24:25], v[74:75]
	v_fma_f64 v[38:39], v[102:103], v[40:41], v[42:43]
	v_fma_f64 v[40:41], v[108:109], v[44:45], -v[114:115]
	v_fma_f64 v[42:43], v[110:111], v[44:45], v[46:47]
	v_fma_f64 v[44:45], v[76:77], v[48:49], -v[146:147]
	;; [unrolled: 2-line block ×8, first 2 shown]
	v_fma_f64 v[26:27], v[26:27], v[72:73], v[74:75]
	ds_write_b128 v132, v[84:87] offset:1456
	ds_write_b128 v132, v[88:91] offset:3808
	;; [unrolled: 1-line block ×13, first 2 shown]
.LBB0_9:
	s_or_b32 exec_lo, exec_lo, s1
	s_waitcnt lgkmcnt(0)
	s_barrier
	buffer_gl0_inv
	ds_read_b128 v[44:47], v132
	ds_read_b128 v[72:75], v132 offset:2352
	ds_read_b128 v[68:71], v132 offset:4704
	;; [unrolled: 1-line block ×12, first 2 shown]
	s_and_saveexec_b32 s0, vcc_lo
	s_cbranch_execz .LBB0_11
; %bb.10:
	ds_read_b128 v[248:251], v132 offset:1456
	ds_read_b128 v[20:23], v132 offset:3808
	;; [unrolled: 1-line block ×9, first 2 shown]
	s_waitcnt lgkmcnt(0)
	buffer_store_dword v76, off, s[48:51], 0 offset:68 ; 4-byte Folded Spill
	buffer_store_dword v77, off, s[48:51], 0 offset:72 ; 4-byte Folded Spill
	buffer_store_dword v78, off, s[48:51], 0 offset:76 ; 4-byte Folded Spill
	buffer_store_dword v79, off, s[48:51], 0 offset:80 ; 4-byte Folded Spill
	ds_read_b128 v[76:79], v132 offset:22624
	s_waitcnt lgkmcnt(0)
	buffer_store_dword v76, off, s[48:51], 0 offset:52 ; 4-byte Folded Spill
	buffer_store_dword v77, off, s[48:51], 0 offset:56 ; 4-byte Folded Spill
	buffer_store_dword v78, off, s[48:51], 0 offset:60 ; 4-byte Folded Spill
	buffer_store_dword v79, off, s[48:51], 0 offset:64 ; 4-byte Folded Spill
	ds_read_b128 v[76:79], v132 offset:24976
	;; [unrolled: 6-line block ×4, first 2 shown]
	s_waitcnt lgkmcnt(0)
	buffer_store_dword v76, off, s[48:51], 0 offset:4 ; 4-byte Folded Spill
	buffer_store_dword v77, off, s[48:51], 0 offset:8 ; 4-byte Folded Spill
	;; [unrolled: 1-line block ×4, first 2 shown]
.LBB0_11:
	s_or_b32 exec_lo, exec_lo, s0
	s_waitcnt lgkmcnt(11)
	v_add_f64 v[76:77], v[44:45], v[72:73]
	v_add_f64 v[78:79], v[46:47], v[74:75]
	s_waitcnt lgkmcnt(0)
	v_add_f64 v[80:81], v[74:75], v[42:43]
	v_add_f64 v[74:75], v[74:75], -v[42:43]
	s_mov_b32 s30, 0x4267c47c
	s_mov_b32 s0, 0xe00740e9
	;; [unrolled: 1-line block ×18, first 2 shown]
	v_add_f64 v[76:77], v[76:77], v[68:69]
	v_add_f64 v[78:79], v[78:79], v[70:71]
	s_mov_b32 s35, 0xbfedeba7
	s_mov_b32 s23, 0xbfd6b1d8
	;; [unrolled: 1-line block ×6, first 2 shown]
	v_add_f64 v[114:115], v[72:73], v[40:41]
	v_add_f64 v[72:73], v[72:73], -v[40:41]
	v_add_f64 v[82:83], v[68:69], v[48:49]
	v_add_f64 v[84:85], v[70:71], v[50:51]
	v_add_f64 v[86:87], v[68:69], -v[48:49]
	v_add_f64 v[70:71], v[70:71], -v[50:51]
	v_add_f64 v[88:89], v[64:65], v[52:53]
	v_add_f64 v[90:91], v[66:67], v[54:55]
	v_add_f64 v[68:69], v[64:65], -v[52:53]
	v_add_f64 v[92:93], v[66:67], -v[54:55]
	v_mul_f64 v[94:95], v[74:75], s[30:31]
	v_mul_f64 v[96:97], v[80:81], s[0:1]
	;; [unrolled: 1-line block ×4, first 2 shown]
	v_add_f64 v[76:77], v[76:77], v[64:65]
	v_add_f64 v[78:79], v[78:79], v[66:67]
	;; [unrolled: 1-line block ×4, first 2 shown]
	v_mul_f64 v[102:103], v[74:75], s[26:27]
	v_mul_f64 v[108:109], v[80:81], s[14:15]
	v_mul_f64 v[110:111], v[74:75], s[34:35]
	v_mul_f64 v[128:129], v[80:81], s[22:23]
	v_mul_f64 v[130:131], v[74:75], s[28:29]
	v_mul_f64 v[134:135], v[80:81], s[20:21]
	v_mul_f64 v[74:75], v[74:75], s[36:37]
	v_mul_f64 v[80:81], v[80:81], s[24:25]
	s_mov_b32 s3, 0x3fddbe06
	s_mov_b32 s17, 0x3fea55e2
	;; [unrolled: 1-line block ×10, first 2 shown]
	v_add_f64 v[76:77], v[76:77], v[60:61]
	v_add_f64 v[78:79], v[78:79], v[62:63]
	v_add_f64 v[60:61], v[60:61], -v[56:57]
	v_add_f64 v[62:63], v[62:63], -v[58:59]
	v_mul_f64 v[136:137], v[70:71], s[12:13]
	v_mul_f64 v[140:141], v[70:71], s[34:35]
	;; [unrolled: 1-line block ×6, first 2 shown]
	v_fma_f64 v[152:153], v[114:115], s[0:1], v[94:95]
	v_fma_f64 v[154:155], v[72:73], s[2:3], v[96:97]
	v_fma_f64 v[94:95], v[114:115], s[0:1], -v[94:95]
	v_fma_f64 v[96:97], v[72:73], s[30:31], v[96:97]
	v_fma_f64 v[156:157], v[114:115], s[4:5], v[98:99]
	;; [unrolled: 1-line block ×6, first 2 shown]
	v_fma_f64 v[110:111], v[114:115], s[22:23], -v[110:111]
	v_fma_f64 v[128:129], v[72:73], s[34:35], v[128:129]
	v_fma_f64 v[168:169], v[114:115], s[20:21], v[130:131]
	v_add_f64 v[76:77], v[76:77], v[32:33]
	v_add_f64 v[78:79], v[78:79], v[34:35]
	v_fma_f64 v[170:171], v[72:73], s[38:39], v[134:135]
	v_fma_f64 v[130:131], v[114:115], s[20:21], -v[130:131]
	v_fma_f64 v[134:135], v[72:73], s[28:29], v[134:135]
	v_fma_f64 v[172:173], v[114:115], s[24:25], v[74:75]
	v_fma_f64 v[74:75], v[114:115], s[24:25], -v[74:75]
	v_mul_f64 v[138:139], v[84:85], s[4:5]
	v_mul_f64 v[174:175], v[84:85], s[20:21]
	;; [unrolled: 1-line block ×3, first 2 shown]
	v_add_f64 v[152:153], v[44:45], v[152:153]
	v_add_f64 v[154:155], v[46:47], v[154:155]
	;; [unrolled: 1-line block ×18, first 2 shown]
	s_waitcnt_vscnt null, 0x0
	v_fma_f64 v[178:179], v[86:87], s[16:17], v[138:139]
	v_fma_f64 v[138:139], v[86:87], s[12:13], v[138:139]
	;; [unrolled: 1-line block ×6, first 2 shown]
	s_barrier
	buffer_gl0_inv
	v_add_f64 v[76:77], v[76:77], v[28:29]
	v_add_f64 v[78:79], v[78:79], v[30:31]
	;; [unrolled: 1-line block ×8, first 2 shown]
	v_fma_f64 v[76:77], v[72:73], s[16:17], v[100:101]
	v_fma_f64 v[78:79], v[114:115], s[4:5], -v[98:99]
	v_fma_f64 v[98:99], v[72:73], s[12:13], v[100:101]
	v_fma_f64 v[100:101], v[114:115], s[14:15], v[102:103]
	v_fma_f64 v[102:103], v[114:115], s[14:15], -v[102:103]
	v_fma_f64 v[114:115], v[72:73], s[42:43], v[80:81]
	v_fma_f64 v[72:73], v[72:73], s[36:37], v[80:81]
	v_mul_f64 v[80:81], v[84:85], s[22:23]
	v_add_f64 v[52:53], v[56:57], v[52:53]
	v_add_f64 v[54:55], v[58:59], v[54:55]
	v_fma_f64 v[56:57], v[82:83], s[4:5], v[136:137]
	v_fma_f64 v[58:59], v[82:83], s[4:5], -v[136:137]
	v_fma_f64 v[136:137], v[82:83], s[22:23], v[140:141]
	v_fma_f64 v[140:141], v[82:83], s[22:23], -v[140:141]
	v_add_f64 v[76:77], v[46:47], v[76:77]
	v_add_f64 v[78:79], v[44:45], v[78:79]
	;; [unrolled: 1-line block ×8, first 2 shown]
	v_fma_f64 v[72:73], v[82:83], s[24:25], v[142:143]
	v_fma_f64 v[74:75], v[82:83], s[24:25], -v[142:143]
	v_fma_f64 v[142:143], v[82:83], s[20:21], v[144:145]
	v_fma_f64 v[144:145], v[82:83], s[20:21], -v[144:145]
	v_fma_f64 v[180:181], v[86:87], s[40:41], v[80:81]
	v_fma_f64 v[80:81], v[86:87], s[34:35], v[80:81]
	v_add_f64 v[48:49], v[52:53], v[48:49]
	v_add_f64 v[50:51], v[54:55], v[50:51]
	v_fma_f64 v[52:53], v[82:83], s[14:15], v[146:147]
	v_fma_f64 v[54:55], v[82:83], s[14:15], -v[146:147]
	v_fma_f64 v[146:147], v[82:83], s[0:1], v[70:71]
	v_fma_f64 v[70:71], v[82:83], s[0:1], -v[70:71]
	v_mul_f64 v[82:83], v[84:85], s[24:25]
	v_mul_f64 v[84:85], v[84:85], s[0:1]
	v_add_f64 v[58:59], v[58:59], v[94:95]
	v_add_f64 v[94:95], v[138:139], v[96:97]
	v_mul_f64 v[138:139], v[92:93], s[36:37]
	v_add_f64 v[56:57], v[56:57], v[152:153]
	v_add_f64 v[96:97], v[136:137], v[156:157]
	v_add_f64 v[78:79], v[140:141], v[78:79]
	v_add_f64 v[72:73], v[72:73], v[100:101]
	v_mul_f64 v[100:101], v[90:91], s[14:15]
	v_add_f64 v[74:75], v[74:75], v[102:103]
	v_mul_f64 v[102:103], v[90:91], s[24:25]
	v_add_f64 v[140:141], v[142:143], v[160:161]
	v_add_f64 v[80:81], v[80:81], v[98:99]
	v_mul_f64 v[98:99], v[92:93], s[26:27]
	v_mul_f64 v[142:143], v[90:91], s[22:23]
	v_add_f64 v[76:77], v[180:181], v[76:77]
	v_add_f64 v[152:153], v[184:185], v[162:163]
	;; [unrolled: 1-line block ×3, first 2 shown]
	v_mul_f64 v[144:145], v[90:91], s[0:1]
	v_add_f64 v[52:53], v[52:53], v[168:169]
	v_add_f64 v[160:161], v[186:187], v[170:171]
	v_fma_f64 v[182:183], v[86:87], s[42:43], v[82:83]
	v_fma_f64 v[82:83], v[86:87], s[36:37], v[82:83]
	;; [unrolled: 1-line block ×4, first 2 shown]
	v_add_f64 v[86:87], v[178:179], v[154:155]
	v_mul_f64 v[154:155], v[92:93], s[2:3]
	v_mul_f64 v[162:163], v[92:93], s[12:13]
	v_add_f64 v[54:55], v[54:55], v[130:131]
	v_mul_f64 v[130:131], v[90:91], s[4:5]
	v_mul_f64 v[90:91], v[90:91], s[20:21]
	v_fma_f64 v[168:169], v[88:89], s[24:25], v[138:139]
	v_fma_f64 v[170:171], v[68:69], s[42:43], v[102:103]
	v_fma_f64 v[138:139], v[88:89], s[24:25], -v[138:139]
	v_fma_f64 v[102:103], v[68:69], s[36:37], v[102:103]
	v_fma_f64 v[156:157], v[88:89], s[14:15], v[98:99]
	v_fma_f64 v[98:99], v[88:89], s[14:15], -v[98:99]
	v_add_f64 v[146:147], v[146:147], v[172:173]
	v_mul_f64 v[172:173], v[62:63], s[34:35]
	v_add_f64 v[44:45], v[70:71], v[44:45]
	v_mul_f64 v[70:71], v[66:67], s[22:23]
	v_add_f64 v[40:41], v[48:49], v[40:41]
	v_add_f64 v[42:43], v[50:51], v[42:43]
	;; [unrolled: 1-line block ×4, first 2 shown]
	v_mul_f64 v[108:109], v[92:93], s[40:41]
	v_fma_f64 v[158:159], v[68:69], s[18:19], v[100:101]
	v_mul_f64 v[92:93], v[92:93], s[28:29]
	v_fma_f64 v[100:101], v[68:69], s[26:27], v[100:101]
	v_add_f64 v[46:47], v[84:85], v[46:47]
	v_add_f64 v[114:115], v[188:189], v[114:115]
	;; [unrolled: 1-line block ×4, first 2 shown]
	v_fma_f64 v[170:171], v[68:69], s[16:17], v[130:131]
	v_fma_f64 v[130:131], v[68:69], s[12:13], v[130:131]
	v_add_f64 v[56:57], v[156:157], v[56:57]
	v_fma_f64 v[156:157], v[68:69], s[34:35], v[142:143]
	v_fma_f64 v[142:143], v[68:69], s[40:41], v[142:143]
	v_add_f64 v[58:59], v[98:99], v[58:59]
	v_fma_f64 v[98:99], v[88:89], s[0:1], v[154:155]
	v_add_f64 v[78:79], v[138:139], v[78:79]
	v_add_f64 v[80:81], v[102:103], v[80:81]
	v_fma_f64 v[102:103], v[68:69], s[38:39], v[90:91]
	v_fma_f64 v[154:155], v[88:89], s[0:1], -v[154:155]
	v_fma_f64 v[168:169], v[88:89], s[4:5], v[162:163]
	v_fma_f64 v[84:85], v[88:89], s[22:23], v[108:109]
	v_fma_f64 v[108:109], v[88:89], s[22:23], -v[108:109]
	v_add_f64 v[86:87], v[158:159], v[86:87]
	v_mul_f64 v[158:159], v[62:63], s[38:39]
	v_add_f64 v[94:95], v[100:101], v[94:95]
	v_fma_f64 v[100:101], v[68:69], s[30:31], v[144:145]
	v_fma_f64 v[144:145], v[68:69], s[2:3], v[144:145]
	;; [unrolled: 1-line block ×3, first 2 shown]
	v_fma_f64 v[162:163], v[88:89], s[4:5], -v[162:163]
	v_fma_f64 v[68:69], v[68:69], s[28:29], v[90:91]
	v_add_f64 v[130:131], v[130:131], v[134:135]
	v_add_f64 v[50:51], v[142:143], v[82:83]
	v_mul_f64 v[142:143], v[66:67], s[14:15]
	v_add_f64 v[82:83], v[98:99], v[140:141]
	v_fma_f64 v[98:99], v[60:61], s[40:41], v[70:71]
	v_fma_f64 v[70:71], v[60:61], s[34:35], v[70:71]
	v_mul_f64 v[140:141], v[66:67], s[0:1]
	v_add_f64 v[102:103], v[102:103], v[114:115]
	v_add_f64 v[52:53], v[168:169], v[52:53]
	v_add_f64 v[72:73], v[84:85], v[72:73]
	v_add_f64 v[48:49], v[108:109], v[74:75]
	v_fma_f64 v[74:75], v[88:89], s[20:21], -v[92:93]
	v_add_f64 v[84:85], v[156:157], v[136:137]
	v_mul_f64 v[88:89], v[66:67], s[20:21]
	v_fma_f64 v[92:93], v[64:65], s[22:23], v[172:173]
	v_mul_f64 v[136:137], v[62:63], s[2:3]
	v_add_f64 v[108:109], v[144:145], v[128:129]
	v_fma_f64 v[128:129], v[64:65], s[22:23], -v[172:173]
	v_add_f64 v[134:135], v[138:139], v[146:147]
	v_fma_f64 v[114:115], v[64:65], s[20:21], v[158:159]
	v_mul_f64 v[138:139], v[62:63], s[26:27]
	v_add_f64 v[46:47], v[68:69], v[46:47]
	v_mul_f64 v[68:69], v[62:63], s[42:43]
	v_mul_f64 v[62:63], v[62:63], s[16:17]
	v_add_f64 v[90:91], v[100:101], v[152:153]
	v_add_f64 v[146:147], v[32:33], v[36:37]
	v_add_f64 v[100:101], v[154:155], v[110:111]
	v_add_f64 v[70:71], v[70:71], v[94:95]
	v_add_f64 v[110:111], v[170:171], v[160:161]
	v_add_f64 v[54:55], v[162:163], v[54:55]
	v_add_f64 v[32:33], v[32:33], -v[36:37]
	v_add_f64 v[44:45], v[74:75], v[44:45]
	v_add_f64 v[74:75], v[34:35], -v[38:39]
	v_fma_f64 v[144:145], v[60:61], s[28:29], v[88:89]
	v_add_f64 v[34:35], v[34:35], v[38:39]
	v_add_f64 v[38:39], v[92:93], v[56:57]
	;; [unrolled: 1-line block ×3, first 2 shown]
	v_fma_f64 v[86:87], v[64:65], s[20:21], -v[158:159]
	v_fma_f64 v[88:89], v[60:61], s[38:39], v[88:89]
	v_mul_f64 v[92:93], v[66:67], s[24:25]
	v_fma_f64 v[94:95], v[64:65], s[0:1], v[136:137]
	v_mul_f64 v[66:67], v[66:67], s[4:5]
	v_fma_f64 v[98:99], v[60:61], s[30:31], v[140:141]
	v_add_f64 v[58:59], v[128:129], v[58:59]
	v_fma_f64 v[128:129], v[64:65], s[0:1], -v[136:137]
	v_fma_f64 v[136:137], v[60:61], s[2:3], v[140:141]
	v_add_f64 v[96:97], v[114:115], v[96:97]
	v_fma_f64 v[114:115], v[64:65], s[14:15], v[138:139]
	v_fma_f64 v[140:141], v[60:61], s[18:19], v[142:143]
	;; [unrolled: 1-line block ×3, first 2 shown]
	v_fma_f64 v[138:139], v[64:65], s[14:15], -v[138:139]
	v_mul_f64 v[152:153], v[74:75], s[28:29]
	v_add_f64 v[76:77], v[144:145], v[76:77]
	v_mul_f64 v[36:37], v[34:35], s[20:21]
	v_fma_f64 v[144:145], v[64:65], s[24:25], v[68:69]
	v_fma_f64 v[68:69], v[64:65], s[24:25], -v[68:69]
	v_add_f64 v[78:79], v[86:87], v[78:79]
	v_add_f64 v[80:81], v[88:89], v[80:81]
	v_fma_f64 v[86:87], v[60:61], s[36:37], v[92:93]
	v_fma_f64 v[88:89], v[60:61], s[42:43], v[92:93]
	v_add_f64 v[72:73], v[94:95], v[72:73]
	v_fma_f64 v[94:95], v[60:61], s[12:13], v[66:67]
	v_fma_f64 v[60:61], v[60:61], s[16:17], v[66:67]
	v_add_f64 v[84:85], v[98:99], v[84:85]
	v_fma_f64 v[92:93], v[64:65], s[4:5], v[62:63]
	v_fma_f64 v[62:63], v[64:65], s[4:5], -v[62:63]
	v_mul_f64 v[98:99], v[34:35], s[14:15]
	v_add_f64 v[64:65], v[114:115], v[82:83]
	v_add_f64 v[66:67], v[140:141], v[90:91]
	v_mul_f64 v[90:91], v[74:75], s[18:19]
	v_add_f64 v[48:49], v[128:129], v[48:49]
	v_add_f64 v[50:51], v[136:137], v[50:51]
	v_mul_f64 v[128:129], v[74:75], s[12:13]
	v_fma_f64 v[82:83], v[146:147], s[20:21], v[152:153]
	v_mul_f64 v[136:137], v[34:35], s[4:5]
	v_fma_f64 v[114:115], v[32:33], s[38:39], v[36:37]
	v_fma_f64 v[36:37], v[32:33], s[28:29], v[36:37]
	v_add_f64 v[54:55], v[68:69], v[54:55]
	v_add_f64 v[108:109], v[142:143], v[108:109]
	;; [unrolled: 1-line block ×5, first 2 shown]
	v_fma_f64 v[88:89], v[146:147], s[20:21], -v[152:153]
	v_mul_f64 v[110:111], v[74:75], s[42:43]
	v_add_f64 v[46:47], v[60:61], v[46:47]
	v_add_f64 v[60:61], v[26:27], -v[30:31]
	v_mul_f64 v[130:131], v[34:35], s[24:25]
	v_add_f64 v[44:45], v[62:63], v[44:45]
	v_fma_f64 v[62:63], v[32:33], s[26:27], v[98:99]
	v_add_f64 v[26:27], v[26:27], v[30:31]
	v_add_f64 v[92:93], v[92:93], v[134:135]
	v_mul_f64 v[134:135], v[34:35], s[0:1]
	v_add_f64 v[94:95], v[94:95], v[102:103]
	v_mul_f64 v[34:35], v[34:35], s[22:23]
	v_fma_f64 v[102:103], v[146:147], s[4:5], v[128:129]
	v_add_f64 v[30:31], v[82:83], v[38:39]
	v_fma_f64 v[38:39], v[146:147], s[14:15], v[90:91]
	v_fma_f64 v[82:83], v[146:147], s[14:15], -v[90:91]
	v_fma_f64 v[90:91], v[32:33], s[18:19], v[98:99]
	v_mul_f64 v[98:99], v[74:75], s[2:3]
	v_add_f64 v[56:57], v[114:115], v[56:57]
	v_fma_f64 v[114:115], v[32:33], s[16:17], v[136:137]
	v_fma_f64 v[128:129], v[146:147], s[4:5], -v[128:129]
	v_add_f64 v[140:141], v[36:37], v[70:71]
	v_add_f64 v[58:59], v[88:89], v[58:59]
	v_fma_f64 v[88:89], v[146:147], s[24:25], v[110:111]
	v_mul_f64 v[36:37], v[74:75], s[34:35]
	v_add_f64 v[70:71], v[24:25], v[28:29]
	v_mul_f64 v[74:75], v[60:61], s[36:37]
	v_fma_f64 v[136:137], v[32:33], s[12:13], v[136:137]
	v_add_f64 v[62:63], v[62:63], v[76:77]
	v_fma_f64 v[76:77], v[32:33], s[42:43], v[130:131]
	v_add_f64 v[28:29], v[24:25], -v[28:29]
	v_mul_f64 v[142:143], v[26:27], s[24:25]
	v_add_f64 v[100:101], v[138:139], v[100:101]
	v_fma_f64 v[138:139], v[32:33], s[36:37], v[130:131]
	v_fma_f64 v[24:25], v[146:147], s[24:25], -v[110:111]
	v_add_f64 v[72:73], v[102:103], v[72:73]
	v_add_f64 v[38:39], v[38:39], v[96:97]
	;; [unrolled: 1-line block ×4, first 2 shown]
	v_fma_f64 v[82:83], v[146:147], s[0:1], v[98:99]
	v_fma_f64 v[90:91], v[32:33], s[30:31], v[134:135]
	v_fma_f64 v[96:97], v[146:147], s[0:1], -v[98:99]
	v_add_f64 v[84:85], v[114:115], v[84:85]
	v_add_f64 v[48:49], v[128:129], v[48:49]
	v_fma_f64 v[102:103], v[32:33], s[40:41], v[34:35]
	v_add_f64 v[64:65], v[88:89], v[64:65]
	v_fma_f64 v[88:89], v[32:33], s[2:3], v[134:135]
	v_fma_f64 v[98:99], v[146:147], s[22:23], v[36:37]
	;; [unrolled: 1-line block ×4, first 2 shown]
	v_mul_f64 v[114:115], v[60:61], s[2:3]
	v_mul_f64 v[128:129], v[26:27], s[0:1]
	v_fma_f64 v[36:37], v[146:147], s[22:23], -v[36:37]
	v_add_f64 v[76:77], v[76:77], v[108:109]
	v_mul_f64 v[108:109], v[60:61], s[28:29]
	v_mul_f64 v[130:131], v[26:27], s[20:21]
	;; [unrolled: 1-line block ×3, first 2 shown]
	v_add_f64 v[50:51], v[136:137], v[50:51]
	v_fma_f64 v[110:111], v[28:29], s[42:43], v[142:143]
	v_mul_f64 v[136:137], v[26:27], s[22:23]
	v_add_f64 v[100:101], v[24:25], v[100:101]
	v_add_f64 v[82:83], v[82:83], v[52:53]
	v_mul_f64 v[52:53], v[60:61], s[16:17]
	v_add_f64 v[86:87], v[90:91], v[86:87]
	v_mul_f64 v[90:91], v[60:61], s[34:35]
	;; [unrolled: 2-line block ×3, first 2 shown]
	v_mul_f64 v[60:61], v[26:27], s[14:15]
	v_add_f64 v[88:89], v[88:89], v[68:69]
	v_add_f64 v[68:69], v[98:99], v[92:93]
	;; [unrolled: 1-line block ×4, first 2 shown]
	v_fma_f64 v[32:33], v[70:71], s[0:1], v[114:115]
	v_fma_f64 v[34:35], v[28:29], s[30:31], v[128:129]
	v_add_f64 v[92:93], v[102:103], v[94:95]
	v_add_f64 v[94:95], v[36:37], v[44:45]
	v_fma_f64 v[44:45], v[70:71], s[20:21], v[108:109]
	v_fma_f64 v[46:47], v[28:29], s[38:39], v[130:131]
	v_add_f64 v[66:67], v[138:139], v[66:67]
	v_fma_f64 v[30:31], v[70:71], s[24:25], -v[74:75]
	v_fma_f64 v[102:103], v[28:29], s[12:13], v[134:135]
	v_add_f64 v[26:27], v[110:111], v[56:57]
	v_fma_f64 v[36:37], v[70:71], s[0:1], -v[114:115]
	v_fma_f64 v[114:115], v[28:29], s[40:41], v[136:137]
	v_fma_f64 v[74:75], v[70:71], s[4:5], v[52:53]
	;; [unrolled: 1-line block ×4, first 2 shown]
	v_fma_f64 v[90:91], v[70:71], s[22:23], -v[90:91]
	v_fma_f64 v[138:139], v[70:71], s[14:15], v[54:55]
	v_fma_f64 v[144:145], v[28:29], s[26:27], v[60:61]
	v_fma_f64 v[146:147], v[70:71], s[14:15], -v[54:55]
	v_fma_f64 v[152:153], v[28:29], s[18:19], v[60:61]
	v_fma_f64 v[56:57], v[70:71], s[20:21], -v[108:109]
	v_fma_f64 v[108:109], v[70:71], s[4:5], -v[52:53]
	v_fma_f64 v[134:135], v[28:29], s[16:17], v[134:135]
	v_fma_f64 v[130:131], v[28:29], s[28:29], v[130:131]
	;; [unrolled: 1-line block ×4, first 2 shown]
	v_add_f64 v[32:33], v[32:33], v[38:39]
	v_add_f64 v[34:35], v[34:35], v[62:63]
	;; [unrolled: 1-line block ×22, first 2 shown]
	ds_write_b128 v133, v[40:43]
	ds_write_b128 v133, v[24:27] offset:16
	ds_write_b128 v133, v[32:35] offset:32
	;; [unrolled: 1-line block ×12, first 2 shown]
	s_and_saveexec_b32 s33, vcc_lo
	s_cbranch_execz .LBB0_13
; %bb.12:
	s_clause 0x13
	buffer_load_dword v133, off, s[48:51], 0 offset:4
	buffer_load_dword v134, off, s[48:51], 0 offset:8
	;; [unrolled: 1-line block ×20, first 2 shown]
	v_add_f64 v[32:33], v[250:251], v[22:23]
	v_add_f64 v[34:35], v[248:249], v[20:21]
	;; [unrolled: 1-line block ×8, first 2 shown]
	s_waitcnt vmcnt(18)
	v_add_f64 v[24:25], v[20:21], -v[133:134]
	s_waitcnt vmcnt(16)
	v_add_f64 v[26:27], v[22:23], -v[135:136]
	;; [unrolled: 2-line block ×4, first 2 shown]
	v_add_f64 v[22:23], v[22:23], v[135:136]
	v_add_f64 v[20:21], v[20:21], v[133:134]
	s_waitcnt vmcnt(10)
	v_add_f64 v[34:35], v[12:13], -v[128:129]
	s_waitcnt vmcnt(8)
	v_add_f64 v[32:33], v[14:15], -v[130:131]
	v_add_f64 v[18:19], v[18:19], v[139:140]
	v_add_f64 v[16:17], v[16:17], v[137:138]
	;; [unrolled: 1-line block ×4, first 2 shown]
	s_waitcnt vmcnt(2)
	v_add_f64 v[40:41], v[4:5], -v[100:101]
	v_add_f64 v[42:43], v[10:11], v[110:111]
	v_mul_f64 v[36:37], v[24:25], s[36:37]
	v_mul_f64 v[38:39], v[26:27], s[36:37]
	;; [unrolled: 1-line block ×11, first 2 shown]
	v_fma_f64 v[46:47], v[22:23], s[24:25], v[36:37]
	v_fma_f64 v[50:51], v[20:21], s[24:25], -v[38:39]
	v_fma_f64 v[52:53], v[22:23], s[24:25], -v[36:37]
	v_fma_f64 v[54:55], v[20:21], s[24:25], v[38:39]
	v_add_f64 v[38:39], v[8:9], -v[108:109]
	v_add_f64 v[36:37], v[10:11], -v[110:111]
	v_fma_f64 v[60:61], v[18:19], s[0:1], v[44:45]
	v_fma_f64 v[62:63], v[16:17], s[0:1], -v[48:49]
	v_fma_f64 v[44:45], v[18:19], s[0:1], -v[44:45]
	v_fma_f64 v[48:49], v[16:17], s[0:1], v[48:49]
	s_waitcnt vmcnt(0)
	v_add_f64 v[10:11], v[6:7], -v[102:103]
	v_add_f64 v[8:9], v[8:9], v[108:109]
	v_fma_f64 v[72:73], v[14:15], s[20:21], v[56:57]
	v_fma_f64 v[56:57], v[14:15], s[20:21], -v[56:57]
	v_fma_f64 v[84:85], v[20:21], s[20:21], -v[74:75]
	v_fma_f64 v[74:75], v[20:21], s[20:21], v[74:75]
	v_fma_f64 v[96:97], v[16:17], s[14:15], -v[82:83]
	v_fma_f64 v[82:83], v[16:17], s[14:15], v[82:83]
	v_add_f64 v[46:47], v[250:251], v[46:47]
	v_add_f64 v[50:51], v[248:249], v[50:51]
	;; [unrolled: 1-line block ×4, first 2 shown]
	v_mul_f64 v[68:69], v[38:39], s[16:17]
	v_mul_f64 v[70:71], v[36:37], s[16:17]
	;; [unrolled: 1-line block ×3, first 2 shown]
	v_add_f64 v[84:85], v[248:249], v[84:85]
	v_add_f64 v[74:75], v[248:249], v[74:75]
	v_add_f64 v[46:47], v[60:61], v[46:47]
	v_fma_f64 v[60:61], v[12:13], s[20:21], -v[58:59]
	v_add_f64 v[50:51], v[62:63], v[50:51]
	v_add_f64 v[52:53], v[44:45], v[52:53]
	v_fma_f64 v[58:59], v[12:13], s[20:21], v[58:59]
	v_add_f64 v[48:49], v[48:49], v[54:55]
	v_add_f64 v[54:55], v[64:65], v[6:7]
	;; [unrolled: 1-line block ×3, first 2 shown]
	v_add_f64 v[44:45], v[0:1], -v[252:253]
	v_add_f64 v[6:7], v[6:7], v[102:103]
	v_mul_f64 v[64:65], v[24:25], s[28:29]
	v_add_f64 v[4:5], v[4:5], v[100:101]
	v_mul_f64 v[66:67], v[40:41], s[34:35]
	v_fma_f64 v[78:79], v[42:43], s[4:5], v[68:69]
	v_add_f64 v[84:85], v[96:97], v[84:85]
	v_fma_f64 v[96:97], v[12:13], s[4:5], -v[88:89]
	v_add_f64 v[74:75], v[82:83], v[74:75]
	v_fma_f64 v[88:89], v[12:13], s[4:5], v[88:89]
	v_add_f64 v[46:47], v[72:73], v[46:47]
	v_fma_f64 v[72:73], v[8:9], s[4:5], -v[70:71]
	v_add_f64 v[50:51], v[60:61], v[50:51]
	v_fma_f64 v[60:61], v[42:43], s[4:5], -v[68:69]
	v_add_f64 v[52:53], v[56:57], v[52:53]
	v_add_f64 v[56:57], v[2:3], -v[254:255]
	v_fma_f64 v[68:69], v[8:9], s[4:5], v[70:71]
	v_add_f64 v[48:49], v[58:59], v[48:49]
	v_add_f64 v[54:55], v[54:55], v[2:3]
	;; [unrolled: 1-line block ×5, first 2 shown]
	v_mul_f64 v[62:63], v[30:31], s[18:19]
	v_fma_f64 v[70:71], v[22:23], s[20:21], v[64:65]
	v_mul_f64 v[80:81], v[44:45], s[18:19]
	v_fma_f64 v[86:87], v[6:7], s[22:23], v[66:67]
	v_fma_f64 v[64:65], v[22:23], s[20:21], -v[64:65]
	v_fma_f64 v[66:67], v[6:7], s[22:23], -v[66:67]
	v_add_f64 v[84:85], v[96:97], v[84:85]
	v_add_f64 v[74:75], v[88:89], v[74:75]
	v_mul_f64 v[88:89], v[38:39], s[26:27]
	v_add_f64 v[46:47], v[78:79], v[46:47]
	v_fma_f64 v[78:79], v[4:5], s[22:23], -v[76:77]
	v_add_f64 v[50:51], v[72:73], v[50:51]
	v_fma_f64 v[72:73], v[4:5], s[22:23], v[76:77]
	v_add_f64 v[52:53], v[60:61], v[52:53]
	v_mul_f64 v[60:61], v[56:57], s[18:19]
	v_mul_f64 v[76:77], v[34:35], s[12:13]
	v_add_f64 v[48:49], v[68:69], v[48:49]
	v_mul_f64 v[68:69], v[24:25], s[34:35]
	v_add_f64 v[54:55], v[54:55], v[254:255]
	v_add_f64 v[58:59], v[58:59], v[252:253]
	v_fma_f64 v[92:93], v[18:19], s[14:15], v[62:63]
	v_add_f64 v[70:71], v[250:251], v[70:71]
	v_fma_f64 v[62:63], v[18:19], s[14:15], -v[62:63]
	v_add_f64 v[64:65], v[250:251], v[64:65]
	v_add_f64 v[46:47], v[86:87], v[46:47]
	v_mul_f64 v[86:87], v[28:29], s[38:39]
	v_add_f64 v[50:51], v[78:79], v[50:51]
	v_fma_f64 v[78:79], v[2:3], s[14:15], v[80:81]
	v_add_f64 v[52:53], v[66:67], v[52:53]
	v_fma_f64 v[66:67], v[0:1], s[14:15], -v[60:61]
	v_fma_f64 v[80:81], v[2:3], s[14:15], -v[80:81]
	v_add_f64 v[72:73], v[72:73], v[48:49]
	v_fma_f64 v[98:99], v[22:23], s[22:23], v[68:69]
	v_fma_f64 v[60:61], v[0:1], s[14:15], v[60:61]
	v_add_f64 v[54:55], v[54:55], v[102:103]
	v_add_f64 v[58:59], v[58:59], v[100:101]
	v_mul_f64 v[100:101], v[38:39], s[42:43]
	v_fma_f64 v[102:103], v[20:21], s[22:23], -v[90:91]
	v_add_f64 v[70:71], v[92:93], v[70:71]
	v_fma_f64 v[92:93], v[14:15], s[4:5], v[76:77]
	v_fma_f64 v[68:69], v[22:23], s[22:23], -v[68:69]
	v_add_f64 v[62:63], v[62:63], v[64:65]
	v_mul_f64 v[64:65], v[36:37], s[42:43]
	v_fma_f64 v[76:77], v[14:15], s[4:5], -v[76:77]
	v_fma_f64 v[90:91], v[20:21], s[22:23], v[90:91]
	v_add_f64 v[48:49], v[78:79], v[46:47]
	v_add_f64 v[46:47], v[66:67], v[50:51]
	v_fma_f64 v[66:67], v[18:19], s[20:21], v[94:95]
	v_add_f64 v[52:53], v[80:81], v[52:53]
	v_add_f64 v[78:79], v[250:251], v[98:99]
	v_mul_f64 v[98:99], v[34:35], s[2:3]
	v_add_f64 v[50:51], v[60:61], v[72:73]
	v_mul_f64 v[60:61], v[40:41], s[2:3]
	v_mul_f64 v[72:73], v[24:25], s[26:27]
	v_fma_f64 v[80:81], v[16:17], s[20:21], -v[86:87]
	v_add_f64 v[82:83], v[248:249], v[102:103]
	v_add_f64 v[70:71], v[92:93], v[70:71]
	v_fma_f64 v[92:93], v[42:43], s[24:25], v[100:101]
	v_fma_f64 v[94:95], v[18:19], s[20:21], -v[94:95]
	v_add_f64 v[68:69], v[250:251], v[68:69]
	v_fma_f64 v[96:97], v[8:9], s[24:25], -v[64:65]
	v_fma_f64 v[100:101], v[42:43], s[24:25], -v[100:101]
	v_add_f64 v[62:63], v[76:77], v[62:63]
	v_mul_f64 v[76:77], v[10:11], s[2:3]
	v_fma_f64 v[86:87], v[16:17], s[20:21], v[86:87]
	v_add_f64 v[90:91], v[248:249], v[90:91]
	v_fma_f64 v[64:65], v[8:9], s[24:25], v[64:65]
	v_add_f64 v[58:59], v[58:59], v[108:109]
	v_mul_f64 v[108:109], v[34:35], s[40:41]
	v_add_f64 v[54:55], v[54:55], v[110:111]
	v_add_f64 v[66:67], v[66:67], v[78:79]
	v_fma_f64 v[78:79], v[14:15], s[0:1], v[98:99]
	v_add_f64 v[80:81], v[80:81], v[82:83]
	v_mul_f64 v[82:83], v[30:31], s[36:37]
	v_add_f64 v[70:71], v[92:93], v[70:71]
	v_fma_f64 v[92:93], v[6:7], s[0:1], v[60:61]
	v_add_f64 v[68:69], v[94:95], v[68:69]
	v_fma_f64 v[94:95], v[22:23], s[14:15], v[72:73]
	v_add_f64 v[84:85], v[96:97], v[84:85]
	v_mul_f64 v[96:97], v[32:33], s[2:3]
	v_add_f64 v[62:63], v[100:101], v[62:63]
	v_fma_f64 v[100:101], v[4:5], s[0:1], -v[76:77]
	v_fma_f64 v[60:61], v[6:7], s[0:1], -v[60:61]
	v_add_f64 v[64:65], v[64:65], v[74:75]
	v_fma_f64 v[74:75], v[14:15], s[0:1], -v[98:99]
	v_mul_f64 v[98:99], v[36:37], s[26:27]
	v_fma_f64 v[76:77], v[4:5], s[0:1], v[76:77]
	v_fma_f64 v[72:73], v[22:23], s[14:15], -v[72:73]
	v_add_f64 v[54:55], v[54:55], v[130:131]
	v_add_f64 v[66:67], v[78:79], v[66:67]
	v_mul_f64 v[78:79], v[26:27], s[26:27]
	v_add_f64 v[58:59], v[58:59], v[128:129]
	v_mul_f64 v[128:129], v[34:35], s[36:37]
	v_mul_f64 v[34:35], v[34:35], s[26:27]
	;; [unrolled: 1-line block ×3, first 2 shown]
	v_add_f64 v[70:71], v[92:93], v[70:71]
	v_fma_f64 v[92:93], v[18:19], s[24:25], v[82:83]
	v_add_f64 v[94:95], v[250:251], v[94:95]
	v_fma_f64 v[82:83], v[18:19], s[24:25], -v[82:83]
	v_fma_f64 v[102:103], v[12:13], s[0:1], -v[96:97]
	v_fma_f64 v[96:97], v[12:13], s[0:1], v[96:97]
	v_add_f64 v[84:85], v[100:101], v[84:85]
	v_add_f64 v[60:61], v[60:61], v[62:63]
	;; [unrolled: 1-line block ×3, first 2 shown]
	v_fma_f64 v[86:87], v[42:43], s[14:15], v[88:89]
	v_mul_f64 v[90:91], v[28:29], s[36:37]
	v_add_f64 v[68:69], v[74:75], v[68:69]
	v_fma_f64 v[74:75], v[8:9], s[14:15], -v[98:99]
	v_add_f64 v[64:65], v[76:77], v[64:65]
	v_fma_f64 v[88:89], v[42:43], s[14:15], -v[88:89]
	v_fma_f64 v[100:101], v[20:21], s[14:15], -v[78:79]
	v_add_f64 v[72:73], v[250:251], v[72:73]
	v_fma_f64 v[78:79], v[20:21], s[14:15], v[78:79]
	v_add_f64 v[54:55], v[54:55], v[139:140]
	v_add_f64 v[58:59], v[58:59], v[137:138]
	;; [unrolled: 1-line block ×3, first 2 shown]
	v_fma_f64 v[94:95], v[14:15], s[22:23], v[108:109]
	v_add_f64 v[80:81], v[102:103], v[80:81]
	v_mul_f64 v[102:103], v[40:41], s[42:43]
	v_add_f64 v[62:63], v[96:97], v[62:63]
	v_add_f64 v[66:67], v[86:87], v[66:67]
	v_fma_f64 v[86:87], v[16:17], s[24:25], -v[90:91]
	v_mul_f64 v[96:97], v[38:39], s[2:3]
	v_fma_f64 v[90:91], v[16:17], s[24:25], v[90:91]
	v_add_f64 v[68:69], v[88:89], v[68:69]
	v_add_f64 v[100:101], v[248:249], v[100:101]
	;; [unrolled: 1-line block ×3, first 2 shown]
	v_mul_f64 v[88:89], v[40:41], s[12:13]
	v_add_f64 v[78:79], v[248:249], v[78:79]
	v_add_f64 v[92:93], v[94:95], v[92:93]
	v_mul_f64 v[94:95], v[32:33], s[40:41]
	v_fma_f64 v[76:77], v[6:7], s[24:25], v[102:103]
	v_add_f64 v[74:75], v[74:75], v[80:81]
	v_fma_f64 v[80:81], v[8:9], s[14:15], v[98:99]
	v_mul_f64 v[32:33], v[32:33], s[26:27]
	v_fma_f64 v[98:99], v[42:43], s[0:1], v[96:97]
	v_fma_f64 v[96:97], v[42:43], s[0:1], -v[96:97]
	v_add_f64 v[86:87], v[86:87], v[100:101]
	v_mul_f64 v[100:101], v[10:11], s[42:43]
	v_add_f64 v[78:79], v[90:91], v[78:79]
	v_add_f64 v[66:67], v[76:77], v[66:67]
	v_fma_f64 v[76:77], v[12:13], s[22:23], -v[94:95]
	v_add_f64 v[62:63], v[80:81], v[62:63]
	v_fma_f64 v[94:95], v[12:13], s[22:23], v[94:95]
	v_add_f64 v[80:81], v[98:99], v[92:93]
	v_fma_f64 v[92:93], v[14:15], s[22:23], -v[108:109]
	v_fma_f64 v[98:99], v[6:7], s[24:25], -v[102:103]
	v_mul_f64 v[102:103], v[36:37], s[2:3]
	v_mul_f64 v[108:109], v[24:25], s[12:13]
	v_fma_f64 v[82:83], v[4:5], s[24:25], -v[100:101]
	v_fma_f64 v[100:101], v[4:5], s[24:25], v[100:101]
	v_mul_f64 v[24:25], v[24:25], s[30:31]
	v_add_f64 v[76:77], v[76:77], v[86:87]
	v_mul_f64 v[86:87], v[26:27], s[30:31]
	v_mul_f64 v[26:27], v[26:27], s[12:13]
	v_add_f64 v[78:79], v[94:95], v[78:79]
	v_add_f64 v[72:73], v[92:93], v[72:73]
	;; [unrolled: 1-line block ×3, first 2 shown]
	v_fma_f64 v[90:91], v[8:9], s[0:1], -v[102:103]
	v_fma_f64 v[92:93], v[22:23], s[4:5], -v[108:109]
	v_add_f64 v[74:75], v[82:83], v[74:75]
	v_fma_f64 v[82:83], v[6:7], s[4:5], v[88:89]
	v_add_f64 v[62:63], v[100:101], v[62:63]
	v_fma_f64 v[98:99], v[22:23], s[0:1], -v[24:25]
	v_fma_f64 v[100:101], v[22:23], s[4:5], v[108:109]
	v_fma_f64 v[22:23], v[22:23], s[0:1], v[24:25]
	;; [unrolled: 1-line block ×3, first 2 shown]
	v_fma_f64 v[88:89], v[6:7], s[4:5], -v[88:89]
	v_fma_f64 v[24:25], v[20:21], s[0:1], v[86:87]
	v_fma_f64 v[108:109], v[20:21], s[4:5], v[26:27]
	v_fma_f64 v[26:27], v[20:21], s[4:5], -v[26:27]
	v_fma_f64 v[20:21], v[20:21], s[0:1], -v[86:87]
	v_mul_f64 v[86:87], v[30:31], s[34:35]
	v_mul_f64 v[30:31], v[30:31], s[12:13]
	v_add_f64 v[72:73], v[96:97], v[72:73]
	v_add_f64 v[76:77], v[90:91], v[76:77]
	;; [unrolled: 1-line block ×4, first 2 shown]
	v_mul_f64 v[82:83], v[28:29], s[12:13]
	v_mul_f64 v[28:29], v[28:29], s[34:35]
	v_add_f64 v[92:93], v[250:251], v[98:99]
	v_add_f64 v[98:99], v[250:251], v[100:101]
	;; [unrolled: 1-line block ×4, first 2 shown]
	v_mul_f64 v[102:103], v[56:57], s[2:3]
	v_add_f64 v[24:25], v[248:249], v[24:25]
	v_add_f64 v[96:97], v[248:249], v[108:109]
	;; [unrolled: 1-line block ×4, first 2 shown]
	v_fma_f64 v[100:101], v[18:19], s[22:23], -v[86:87]
	v_fma_f64 v[108:109], v[18:19], s[4:5], -v[30:31]
	v_fma_f64 v[86:87], v[18:19], s[22:23], v[86:87]
	v_fma_f64 v[18:19], v[18:19], s[4:5], v[30:31]
	;; [unrolled: 1-line block ×4, first 2 shown]
	v_fma_f64 v[28:29], v[16:17], s[22:23], -v[28:29]
	v_fma_f64 v[16:17], v[16:17], s[4:5], -v[82:83]
	v_mul_f64 v[82:83], v[44:45], s[34:35]
	v_add_f64 v[30:31], v[100:101], v[90:91]
	v_add_f64 v[90:91], v[108:109], v[92:93]
	v_mul_f64 v[100:101], v[38:39], s[38:39]
	v_fma_f64 v[108:109], v[14:15], s[24:25], -v[128:129]
	v_add_f64 v[86:87], v[86:87], v[98:99]
	v_fma_f64 v[98:99], v[14:15], s[14:15], -v[34:35]
	v_mul_f64 v[38:39], v[38:39], s[34:35]
	v_add_f64 v[24:25], v[110:111], v[24:25]
	v_add_f64 v[96:97], v[114:115], v[96:97]
	v_fma_f64 v[110:111], v[12:13], s[24:25], v[130:131]
	v_fma_f64 v[114:115], v[12:13], s[14:15], v[32:33]
	v_add_f64 v[26:27], v[28:29], v[26:27]
	v_mul_f64 v[28:29], v[36:37], s[34:35]
	v_fma_f64 v[128:129], v[14:15], s[24:25], v[128:129]
	v_fma_f64 v[130:131], v[12:13], s[24:25], -v[130:131]
	v_mul_f64 v[36:37], v[36:37], s[38:39]
	v_fma_f64 v[14:15], v[14:15], s[14:15], v[34:35]
	v_add_f64 v[18:19], v[18:19], v[22:23]
	v_fma_f64 v[12:13], v[12:13], s[14:15], -v[32:33]
	v_fma_f64 v[22:23], v[2:3], s[22:23], v[82:83]
	v_add_f64 v[16:17], v[16:17], v[20:21]
	v_fma_f64 v[32:33], v[2:3], s[22:23], -v[82:83]
	v_mul_f64 v[34:35], v[44:45], s[16:17]
	v_mul_f64 v[92:93], v[56:57], s[34:35]
	v_add_f64 v[30:31], v[108:109], v[30:31]
	v_mul_f64 v[108:109], v[10:11], s[12:13]
	v_add_f64 v[82:83], v[98:99], v[90:91]
	v_fma_f64 v[90:91], v[42:43], s[20:21], -v[100:101]
	v_fma_f64 v[94:95], v[42:43], s[22:23], -v[38:39]
	v_fma_f64 v[100:101], v[42:43], s[20:21], v[100:101]
	v_add_f64 v[96:97], v[110:111], v[96:97]
	v_add_f64 v[24:25], v[114:115], v[24:25]
	v_fma_f64 v[38:39], v[42:43], s[22:23], v[38:39]
	v_fma_f64 v[98:99], v[8:9], s[22:23], v[28:29]
	v_add_f64 v[86:87], v[128:129], v[86:87]
	v_add_f64 v[26:27], v[130:131], v[26:27]
	v_fma_f64 v[110:111], v[8:9], s[20:21], v[36:37]
	v_mul_f64 v[42:43], v[40:41], s[18:19]
	v_fma_f64 v[36:37], v[8:9], s[20:21], -v[36:37]
	v_mul_f64 v[40:41], v[40:41], s[28:29]
	v_add_f64 v[14:15], v[14:15], v[18:19]
	v_fma_f64 v[8:9], v[8:9], s[22:23], -v[28:29]
	v_mul_f64 v[28:29], v[10:11], s[28:29]
	v_mul_f64 v[10:11], v[10:11], s[18:19]
	;; [unrolled: 1-line block ×3, first 2 shown]
	v_add_f64 v[12:13], v[12:13], v[16:17]
	v_fma_f64 v[20:21], v[0:1], s[22:23], -v[92:93]
	v_fma_f64 v[114:115], v[2:3], s[4:5], v[34:35]
	v_fma_f64 v[34:35], v[2:3], s[4:5], -v[34:35]
	v_add_f64 v[16:17], v[90:91], v[30:31]
	v_mul_f64 v[30:31], v[44:45], s[28:29]
	v_add_f64 v[82:83], v[94:95], v[82:83]
	v_mul_f64 v[90:91], v[56:57], s[28:29]
	v_fma_f64 v[94:95], v[4:5], s[4:5], -v[108:109]
	v_fma_f64 v[108:109], v[4:5], s[4:5], v[108:109]
	v_add_f64 v[24:25], v[98:99], v[24:25]
	v_mul_f64 v[98:99], v[44:45], s[2:3]
	v_add_f64 v[86:87], v[100:101], v[86:87]
	v_add_f64 v[96:97], v[110:111], v[96:97]
	v_fma_f64 v[100:101], v[6:7], s[14:15], -v[42:43]
	v_add_f64 v[26:27], v[36:37], v[26:27]
	v_fma_f64 v[36:37], v[6:7], s[20:21], -v[40:41]
	v_mul_f64 v[44:45], v[44:45], s[36:37]
	v_fma_f64 v[42:43], v[6:7], s[14:15], v[42:43]
	v_fma_f64 v[6:7], v[6:7], s[20:21], v[40:41]
	v_add_f64 v[14:15], v[38:39], v[14:15]
	v_fma_f64 v[38:39], v[4:5], s[14:15], v[10:11]
	v_fma_f64 v[40:41], v[4:5], s[20:21], v[28:29]
	v_fma_f64 v[10:11], v[4:5], s[14:15], -v[10:11]
	v_fma_f64 v[4:5], v[4:5], s[20:21], -v[28:29]
	;; [unrolled: 1-line block ×3, first 2 shown]
	v_fma_f64 v[110:111], v[0:1], s[4:5], v[18:19]
	v_add_f64 v[8:9], v[8:9], v[12:13]
	v_fma_f64 v[128:129], v[2:3], s[20:21], v[30:31]
	v_add_f64 v[12:13], v[88:89], v[72:73]
	v_fma_f64 v[72:73], v[0:1], s[20:21], -v[90:91]
	v_fma_f64 v[18:19], v[2:3], s[20:21], -v[30:31]
	v_fma_f64 v[30:31], v[0:1], s[20:21], v[90:91]
	v_fma_f64 v[88:89], v[2:3], s[0:1], -v[98:99]
	v_fma_f64 v[90:91], v[0:1], s[0:1], v[102:103]
	v_add_f64 v[76:77], v[94:95], v[76:77]
	v_add_f64 v[16:17], v[100:101], v[16:17]
	v_fma_f64 v[94:95], v[2:3], s[0:1], v[98:99]
	v_add_f64 v[36:37], v[36:37], v[82:83]
	v_fma_f64 v[82:83], v[2:3], s[24:25], -v[44:45]
	v_add_f64 v[42:43], v[42:43], v[86:87]
	v_fma_f64 v[44:45], v[2:3], s[24:25], v[44:45]
	v_add_f64 v[98:99], v[6:7], v[14:15]
	v_add_f64 v[38:39], v[38:39], v[96:97]
	v_mul_f64 v[56:57], v[56:57], s[36:37]
	v_add_f64 v[40:41], v[40:41], v[24:25]
	v_add_f64 v[78:79], v[108:109], v[78:79]
	v_fma_f64 v[92:93], v[0:1], s[22:23], v[92:93]
	v_fma_f64 v[86:87], v[0:1], s[0:1], -v[102:103]
	v_add_f64 v[96:97], v[10:11], v[26:27]
	v_add_f64 v[102:103], v[4:5], v[8:9]
	;; [unrolled: 1-line block ×17, first 2 shown]
	buffer_load_dword v44, off, s[48:51], 0 offset:788 ; 4-byte Folded Reload
	v_fma_f64 v[100:101], v[0:1], s[24:25], v[56:57]
	v_fma_f64 v[56:57], v[0:1], s[24:25], -v[56:57]
	v_add_f64 v[0:1], v[20:21], v[84:85]
	v_add_f64 v[12:13], v[30:31], v[78:79]
	;; [unrolled: 1-line block ×7, first 2 shown]
	s_waitcnt vmcnt(0)
	v_lshlrev_b32_e32 v44, 4, v44
	ds_write_b128 v44, v[24:27]
	ds_write_b128 v44, v[20:23] offset:16
	ds_write_b128 v44, v[16:19] offset:32
	;; [unrolled: 1-line block ×12, first 2 shown]
.LBB0_13:
	s_or_b32 exec_lo, exec_lo, s33
	s_waitcnt lgkmcnt(0)
	s_barrier
	buffer_gl0_inv
	ds_read_b128 v[4:7], v132 offset:4368
	ds_read_b128 v[0:3], v132 offset:2912
	s_clause 0x3
	buffer_load_dword v10, off, s[48:51], 0 offset:524
	buffer_load_dword v11, off, s[48:51], 0 offset:528
	;; [unrolled: 1-line block ×4, first 2 shown]
	s_mov_b32 s14, 0xe976ee23
	s_mov_b32 s4, 0x429ad128
	;; [unrolled: 1-line block ×20, first 2 shown]
	s_waitcnt vmcnt(0) lgkmcnt(1)
	v_mul_f64 v[8:9], v[12:13], v[6:7]
	v_fma_f64 v[64:65], v[10:11], v[4:5], v[8:9]
	v_mul_f64 v[4:5], v[12:13], v[4:5]
	v_fma_f64 v[66:67], v[10:11], v[6:7], -v[4:5]
	ds_read_b128 v[4:7], v132 offset:8736
	ds_read_b128 v[8:11], v132 offset:10192
	s_clause 0x3
	buffer_load_dword v14, off, s[48:51], 0 offset:508
	buffer_load_dword v15, off, s[48:51], 0 offset:512
	buffer_load_dword v16, off, s[48:51], 0 offset:516
	buffer_load_dword v17, off, s[48:51], 0 offset:520
	s_waitcnt vmcnt(0) lgkmcnt(1)
	v_mul_f64 v[12:13], v[16:17], v[6:7]
	v_fma_f64 v[68:69], v[14:15], v[4:5], v[12:13]
	v_mul_f64 v[4:5], v[16:17], v[4:5]
	v_fma_f64 v[70:71], v[14:15], v[6:7], -v[4:5]
	ds_read_b128 v[4:7], v132 offset:13104
	ds_read_b128 v[12:15], v132 offset:11648
	s_clause 0x3
	buffer_load_dword v18, off, s[48:51], 0 offset:492
	buffer_load_dword v19, off, s[48:51], 0 offset:496
	buffer_load_dword v20, off, s[48:51], 0 offset:500
	buffer_load_dword v21, off, s[48:51], 0 offset:504
	;; [unrolled: 12-line block ×3, first 2 shown]
	s_waitcnt vmcnt(0) lgkmcnt(1)
	v_mul_f64 v[20:21], v[24:25], v[6:7]
	v_fma_f64 v[76:77], v[22:23], v[4:5], v[20:21]
	v_mul_f64 v[4:5], v[24:25], v[4:5]
	v_add_f64 v[90:91], v[72:73], v[76:77]
	v_fma_f64 v[78:79], v[22:23], v[6:7], -v[4:5]
	ds_read_b128 v[4:7], v132 offset:21840
	ds_read_b128 v[20:23], v132 offset:20384
	v_add_f64 v[72:73], v[76:77], -v[72:73]
	s_waitcnt lgkmcnt(1)
	v_mul_f64 v[24:25], v[222:223], v[6:7]
	v_add_f64 v[96:97], v[74:75], v[78:79]
	v_fma_f64 v[80:81], v[220:221], v[4:5], v[24:25]
	v_mul_f64 v[4:5], v[222:223], v[4:5]
	v_fma_f64 v[82:83], v[220:221], v[6:7], -v[4:5]
	ds_read_b128 v[4:7], v132 offset:26208
	ds_read_b128 v[24:27], v132 offset:27664
	s_waitcnt lgkmcnt(1)
	v_mul_f64 v[28:29], v[218:219], v[6:7]
	v_add_f64 v[94:95], v[70:71], v[82:83]
	v_fma_f64 v[84:85], v[216:217], v[4:5], v[28:29]
	v_mul_f64 v[4:5], v[218:219], v[4:5]
	v_add_f64 v[88:89], v[64:65], v[84:85]
	v_fma_f64 v[86:87], v[216:217], v[6:7], -v[4:5]
	ds_read_b128 v[4:7], v132 offset:5824
	ds_read_b128 v[52:55], v132 offset:7280
	v_add_f64 v[76:77], v[64:65], -v[84:85]
	v_add_f64 v[64:65], v[70:71], -v[82:83]
	;; [unrolled: 1-line block ×4, first 2 shown]
	s_waitcnt lgkmcnt(1)
	v_mul_f64 v[28:29], v[242:243], v[6:7]
	v_add_f64 v[92:93], v[66:67], v[86:87]
	v_add_f64 v[74:75], v[66:67], -v[86:87]
	v_add_f64 v[86:87], v[70:71], v[64:65]
	v_fma_f64 v[28:29], v[240:241], v[4:5], v[28:29]
	v_mul_f64 v[4:5], v[242:243], v[4:5]
	v_add_f64 v[82:83], v[94:95], -v[92:93]
	v_add_f64 v[100:101], v[64:65], -v[74:75]
	v_add_f64 v[86:87], v[86:87], v[74:75]
	v_fma_f64 v[30:31], v[240:241], v[6:7], -v[4:5]
	v_mul_f64 v[4:5], v[230:231], v[10:11]
	v_fma_f64 v[32:33], v[228:229], v[8:9], v[4:5]
	v_mul_f64 v[4:5], v[230:231], v[8:9]
	v_fma_f64 v[34:35], v[228:229], v[10:11], -v[4:5]
	ds_read_b128 v[4:7], v132 offset:14560
	ds_read_b128 v[56:59], v132 offset:16016
	s_waitcnt lgkmcnt(1)
	v_mul_f64 v[8:9], v[238:239], v[6:7]
	v_fma_f64 v[36:37], v[236:237], v[4:5], v[8:9]
	v_mul_f64 v[4:5], v[238:239], v[4:5]
	v_fma_f64 v[38:39], v[236:237], v[6:7], -v[4:5]
	v_mul_f64 v[4:5], v[226:227], v[18:19]
	v_fma_f64 v[40:41], v[224:225], v[16:17], v[4:5]
	v_mul_f64 v[4:5], v[226:227], v[16:17]
	v_fma_f64 v[42:43], v[224:225], v[18:19], -v[4:5]
	ds_read_b128 v[4:7], v132 offset:23296
	ds_read_b128 v[60:63], v132 offset:24752
	s_waitcnt lgkmcnt(1)
	v_mul_f64 v[8:9], v[246:247], v[6:7]
	v_fma_f64 v[44:45], v[244:245], v[4:5], v[8:9]
	s_clause 0x7
	buffer_load_dword v8, off, s[48:51], 0 offset:428
	buffer_load_dword v9, off, s[48:51], 0 offset:432
	;; [unrolled: 1-line block ×8, first 2 shown]
	v_mul_f64 v[4:5], v[246:247], v[4:5]
	v_fma_f64 v[46:47], v[244:245], v[6:7], -v[4:5]
	v_mul_f64 v[4:5], v[234:235], v[26:27]
	v_fma_f64 v[48:49], v[232:233], v[24:25], v[4:5]
	v_mul_f64 v[4:5], v[234:235], v[24:25]
	v_fma_f64 v[50:51], v[232:233], v[26:27], -v[4:5]
	s_waitcnt vmcnt(4)
	v_mul_f64 v[4:5], v[10:11], v[54:55]
	v_mul_f64 v[6:7], v[10:11], v[52:53]
	s_waitcnt vmcnt(0)
	v_mul_f64 v[10:11], v[18:19], v[12:13]
	v_fma_f64 v[4:5], v[8:9], v[52:53], v[4:5]
	v_fma_f64 v[6:7], v[8:9], v[54:55], -v[6:7]
	v_mul_f64 v[8:9], v[18:19], v[14:15]
	v_fma_f64 v[10:11], v[16:17], v[14:15], -v[10:11]
	v_fma_f64 v[8:9], v[16:17], v[12:13], v[8:9]
	s_clause 0x7
	buffer_load_dword v16, off, s[48:51], 0 offset:396
	buffer_load_dword v17, off, s[48:51], 0 offset:400
	;; [unrolled: 1-line block ×8, first 2 shown]
	s_waitcnt vmcnt(4)
	v_mul_f64 v[12:13], v[18:19], v[58:59]
	v_mul_f64 v[14:15], v[18:19], v[56:57]
	s_waitcnt vmcnt(0)
	v_mul_f64 v[18:19], v[26:27], v[20:21]
	v_fma_f64 v[12:13], v[16:17], v[56:57], v[12:13]
	v_fma_f64 v[14:15], v[16:17], v[58:59], -v[14:15]
	v_mul_f64 v[16:17], v[26:27], v[22:23]
	v_fma_f64 v[18:19], v[24:25], v[22:23], -v[18:19]
	v_fma_f64 v[16:17], v[24:25], v[20:21], v[16:17]
	s_clause 0x3
	buffer_load_dword v24, off, s[48:51], 0 offset:460
	buffer_load_dword v25, off, s[48:51], 0 offset:464
	;; [unrolled: 1-line block ×4, first 2 shown]
	ds_read_b128 v[52:55], v132 offset:29120
	s_clause 0x3
	buffer_load_dword v56, off, s[48:51], 0 offset:444
	buffer_load_dword v57, off, s[48:51], 0 offset:448
	;; [unrolled: 1-line block ×4, first 2 shown]
	s_waitcnt vmcnt(4) lgkmcnt(1)
	v_mul_f64 v[20:21], v[26:27], v[62:63]
	v_mul_f64 v[22:23], v[26:27], v[60:61]
	s_waitcnt vmcnt(0) lgkmcnt(0)
	v_mul_f64 v[26:27], v[58:59], v[52:53]
	v_fma_f64 v[20:21], v[24:25], v[60:61], v[20:21]
	v_fma_f64 v[22:23], v[24:25], v[62:63], -v[22:23]
	v_mul_f64 v[24:25], v[58:59], v[54:55]
	v_add_f64 v[60:61], v[68:69], v[80:81]
	v_add_f64 v[68:69], v[68:69], -v[80:81]
	v_fma_f64 v[26:27], v[56:57], v[54:55], -v[26:27]
	v_fma_f64 v[24:25], v[56:57], v[52:53], v[24:25]
	v_add_f64 v[52:53], v[60:61], v[88:89]
	v_add_f64 v[78:79], v[60:61], -v[88:89]
	v_add_f64 v[66:67], v[72:73], -v[68:69]
	;; [unrolled: 1-line block ×4, first 2 shown]
	v_add_f64 v[60:61], v[72:73], v[68:69]
	v_add_f64 v[68:69], v[68:69], -v[76:77]
	v_add_f64 v[62:63], v[90:91], v[52:53]
	v_add_f64 v[52:53], v[94:95], v[92:93]
	v_add_f64 v[94:95], v[70:71], -v[64:65]
	v_mul_f64 v[108:109], v[66:67], s[14:15]
	v_add_f64 v[90:91], v[92:93], -v[96:97]
	v_add_f64 v[92:93], v[74:75], -v[70:71]
	v_mul_f64 v[70:71], v[100:101], s[4:5]
	v_mul_f64 v[88:89], v[88:89], s[16:17]
	v_add_f64 v[102:103], v[60:61], v[76:77]
	v_mul_f64 v[64:65], v[84:85], s[0:1]
	v_add_f64 v[76:77], v[76:77], -v[72:73]
	v_mul_f64 v[60:61], v[80:81], s[0:1]
	v_add_f64 v[98:99], v[96:97], v[52:53]
	ds_read_b128 v[52:55], v132
	ds_read_b128 v[56:59], v132 offset:1456
	v_fma_f64 v[66:67], v[68:69], s[4:5], -v[108:109]
	v_mul_f64 v[68:69], v[68:69], s[4:5]
	v_mul_f64 v[90:91], v[90:91], s[16:17]
	v_fma_f64 v[70:71], v[92:93], s[22:23], -v[70:71]
	v_fma_f64 v[72:73], v[78:79], s[20:21], -v[88:89]
	v_mul_f64 v[94:95], v[94:95], s[14:15]
	v_fma_f64 v[64:65], v[82:83], s[18:19], -v[64:65]
	s_waitcnt lgkmcnt(0)
	v_fma_f64 v[60:61], v[78:79], s[18:19], -v[60:61]
	s_barrier
	buffer_gl0_inv
	v_fma_f64 v[80:81], v[80:81], s[0:1], v[88:89]
	v_add_f64 v[52:53], v[52:53], v[62:63]
	v_add_f64 v[54:55], v[54:55], v[98:99]
	v_fma_f64 v[66:67], v[102:103], s[2:3], v[66:67]
	v_fma_f64 v[68:69], v[76:77], s[22:23], -v[68:69]
	v_fma_f64 v[74:75], v[82:83], s[20:21], -v[90:91]
	v_fma_f64 v[82:83], v[86:87], s[2:3], v[70:71]
	v_fma_f64 v[76:77], v[76:77], s[12:13], v[108:109]
	;; [unrolled: 1-line block ×3, first 2 shown]
	v_fma_f64 v[62:63], v[100:101], s[4:5], -v[94:95]
	v_fma_f64 v[98:99], v[98:99], s[24:25], v[54:55]
	v_fma_f64 v[78:79], v[102:103], s[2:3], v[68:69]
	v_add_f64 v[72:73], v[72:73], v[110:111]
	v_fma_f64 v[114:115], v[86:87], s[2:3], v[62:63]
	v_add_f64 v[74:75], v[74:75], v[98:99]
	v_add_f64 v[80:81], v[80:81], v[110:111]
	;; [unrolled: 1-line block ×5, first 2 shown]
	v_add_f64 v[72:73], v[72:73], -v[82:83]
	v_fma_f64 v[82:83], v[84:85], s[0:1], v[90:91]
	v_add_f64 v[70:71], v[74:75], -v[78:79]
	v_add_f64 v[74:75], v[78:79], v[74:75]
	v_fma_f64 v[78:79], v[92:93], s[12:13], v[94:95]
	v_fma_f64 v[84:85], v[102:103], s[2:3], v[76:77]
	v_add_f64 v[60:61], v[128:129], -v[114:115]
	v_add_f64 v[62:63], v[66:67], v[130:131]
	v_add_f64 v[64:65], v[114:115], v[128:129]
	v_add_f64 v[66:67], v[130:131], -v[66:67]
	v_add_f64 v[82:83], v[82:83], v[98:99]
	v_fma_f64 v[86:87], v[86:87], s[2:3], v[78:79]
	v_add_f64 v[78:79], v[82:83], -v[84:85]
	v_add_f64 v[82:83], v[84:85], v[82:83]
	buffer_load_dword v84, off, s[48:51], 0 offset:572 ; 4-byte Folded Reload
	v_add_f64 v[76:77], v[86:87], v[80:81]
	v_add_f64 v[80:81], v[80:81], -v[86:87]
	s_waitcnt vmcnt(0)
	ds_write_b128 v84, v[52:55]
	ds_write_b128 v84, v[76:79] offset:208
	ds_write_b128 v84, v[68:71] offset:416
	;; [unrolled: 1-line block ×6, first 2 shown]
	v_add_f64 v[60:61], v[28:29], v[48:49]
	v_add_f64 v[62:63], v[32:33], v[44:45]
	;; [unrolled: 1-line block ×6, first 2 shown]
	v_add_f64 v[34:35], v[34:35], -v[46:47]
	v_add_f64 v[38:39], v[42:43], -v[38:39]
	;; [unrolled: 1-line block ×6, first 2 shown]
	v_add_f64 v[52:53], v[62:63], v[60:61]
	v_add_f64 v[44:45], v[64:65], -v[62:63]
	v_add_f64 v[46:47], v[62:63], -v[60:61]
	;; [unrolled: 1-line block ×5, first 2 shown]
	v_add_f64 v[28:29], v[38:39], v[34:35]
	v_add_f64 v[76:77], v[32:33], -v[40:41]
	v_add_f64 v[66:67], v[64:65], v[52:53]
	v_add_f64 v[52:53], v[70:71], v[68:69]
	v_mul_f64 v[62:63], v[30:31], s[14:15]
	v_add_f64 v[30:31], v[36:37], v[32:33]
	v_add_f64 v[80:81], v[28:29], v[42:43]
	v_add_f64 v[74:75], v[72:73], v[52:53]
	v_add_f64 v[52:53], v[56:57], v[66:67]
	v_add_f64 v[56:57], v[34:35], -v[42:43]
	v_mul_f64 v[34:35], v[44:45], s[0:1]
	v_add_f64 v[78:79], v[30:31], v[40:41]
	v_add_f64 v[54:55], v[58:59], v[74:75]
	v_mul_f64 v[58:59], v[50:51], s[0:1]
	v_fma_f64 v[66:67], v[66:67], s[24:25], v[52:53]
	v_fma_f64 v[34:35], v[46:47], s[18:19], -v[34:35]
	v_fma_f64 v[28:29], v[56:57], s[4:5], -v[62:63]
	v_fma_f64 v[70:71], v[74:75], s[24:25], v[54:55]
	v_add_f64 v[74:75], v[36:37], -v[32:33]
	v_fma_f64 v[58:59], v[48:49], s[18:19], -v[58:59]
	v_add_f64 v[32:33], v[34:35], v[66:67]
	v_mul_f64 v[74:75], v[74:75], s[14:15]
	v_add_f64 v[34:35], v[58:59], v[70:71]
	v_fma_f64 v[58:59], v[80:81], s[2:3], v[28:29]
	v_fma_f64 v[28:29], v[76:77], s[4:5], -v[74:75]
	v_fma_f64 v[82:83], v[78:79], s[2:3], v[28:29]
	v_add_f64 v[28:29], v[32:33], -v[58:59]
	v_add_f64 v[32:33], v[58:59], v[32:33]
	v_add_f64 v[58:59], v[60:61], -v[64:65]
	v_add_f64 v[60:61], v[68:69], -v[72:73]
	v_add_f64 v[64:65], v[40:41], -v[36:37]
	v_add_f64 v[68:69], v[42:43], -v[38:39]
	v_mul_f64 v[38:39], v[76:77], s[4:5]
	v_mul_f64 v[36:37], v[56:57], s[4:5]
	v_add_f64 v[30:31], v[82:83], v[34:35]
	v_add_f64 v[34:35], v[34:35], -v[82:83]
	v_mul_f64 v[58:59], v[58:59], s[16:17]
	v_mul_f64 v[60:61], v[60:61], s[16:17]
	v_fma_f64 v[38:39], v[64:65], s[22:23], -v[38:39]
	v_fma_f64 v[36:37], v[68:69], s[22:23], -v[36:37]
	v_fma_f64 v[44:45], v[44:45], s[0:1], v[58:59]
	v_fma_f64 v[42:43], v[48:49], s[20:21], -v[60:61]
	v_fma_f64 v[40:41], v[46:47], s[20:21], -v[58:59]
	v_fma_f64 v[48:49], v[78:79], s[2:3], v[38:39]
	v_fma_f64 v[46:47], v[80:81], s[2:3], v[36:37]
	v_add_f64 v[56:57], v[44:45], v[66:67]
	v_add_f64 v[42:43], v[42:43], v[70:71]
	v_add_f64 v[40:41], v[40:41], v[66:67]
	v_add_f64 v[38:39], v[42:43], -v[48:49]
	v_add_f64 v[42:43], v[48:49], v[42:43]
	v_fma_f64 v[48:49], v[68:69], s[12:13], v[62:63]
	v_add_f64 v[36:37], v[46:47], v[40:41]
	v_add_f64 v[40:41], v[40:41], -v[46:47]
	v_fma_f64 v[46:47], v[50:51], s[0:1], v[60:61]
	v_fma_f64 v[50:51], v[64:65], s[12:13], v[74:75]
	;; [unrolled: 1-line block ×3, first 2 shown]
	v_add_f64 v[58:59], v[46:47], v[70:71]
	v_fma_f64 v[50:51], v[78:79], s[2:3], v[50:51]
	v_add_f64 v[44:45], v[48:49], v[56:57]
	v_add_f64 v[48:49], v[56:57], -v[48:49]
	buffer_load_dword v56, off, s[48:51], 0 offset:588 ; 4-byte Folded Reload
	v_add_f64 v[46:47], v[58:59], -v[50:51]
	v_add_f64 v[50:51], v[50:51], v[58:59]
	s_waitcnt vmcnt(0)
	ds_write_b128 v56, v[52:55]
	ds_write_b128 v56, v[44:47] offset:208
	ds_write_b128 v56, v[36:39] offset:416
	;; [unrolled: 1-line block ×6, first 2 shown]
	v_add_f64 v[28:29], v[4:5], v[24:25]
	v_add_f64 v[30:31], v[8:9], v[20:21]
	v_add_f64 v[36:37], v[6:7], v[26:27]
	v_add_f64 v[38:39], v[10:11], v[22:23]
	v_add_f64 v[32:33], v[12:13], v[16:17]
	v_add_f64 v[40:41], v[14:15], v[18:19]
	v_add_f64 v[10:11], v[10:11], -v[22:23]
	v_add_f64 v[14:15], v[18:19], -v[14:15]
	v_add_f64 v[8:9], v[8:9], -v[20:21]
	v_add_f64 v[12:13], v[16:17], -v[12:13]
	v_add_f64 v[18:19], v[6:7], -v[26:27]
	v_add_f64 v[16:17], v[4:5], -v[24:25]
	v_add_f64 v[34:35], v[30:31], v[28:29]
	v_add_f64 v[22:23], v[30:31], -v[28:29]
	v_add_f64 v[42:43], v[38:39], v[36:37]
	v_add_f64 v[20:21], v[32:33], -v[30:31]
	v_add_f64 v[26:27], v[40:41], -v[38:39]
	;; [unrolled: 1-line block ×4, first 2 shown]
	v_add_f64 v[4:5], v[14:15], v[10:11]
	v_add_f64 v[46:47], v[12:13], -v[8:9]
	v_add_f64 v[30:31], v[10:11], -v[18:19]
	v_add_f64 v[48:49], v[8:9], -v[16:17]
	v_add_f64 v[28:29], v[28:29], -v[32:33]
	v_add_f64 v[34:35], v[32:33], v[34:35]
	v_add_f64 v[32:33], v[36:37], -v[40:41]
	v_add_f64 v[42:43], v[40:41], v[42:43]
	v_mul_f64 v[10:11], v[20:21], s[0:1]
	v_mul_f64 v[38:39], v[26:27], s[0:1]
	v_add_f64 v[36:37], v[16:17], -v[12:13]
	v_mul_f64 v[44:45], v[6:7], s[14:15]
	v_add_f64 v[6:7], v[12:13], v[8:9]
	v_add_f64 v[52:53], v[4:5], v[18:19]
	v_mul_f64 v[46:47], v[46:47], s[14:15]
	v_mul_f64 v[12:13], v[30:31], s[4:5]
	;; [unrolled: 1-line block ×3, first 2 shown]
	v_add_f64 v[0:1], v[0:1], v[34:35]
	v_mul_f64 v[32:33], v[32:33], s[16:17]
	v_add_f64 v[2:3], v[2:3], v[42:43]
	v_fma_f64 v[10:11], v[22:23], s[18:19], -v[10:11]
	v_fma_f64 v[38:39], v[24:25], s[18:19], -v[38:39]
	;; [unrolled: 1-line block ×3, first 2 shown]
	v_add_f64 v[50:51], v[6:7], v[16:17]
	v_fma_f64 v[20:21], v[20:21], s[0:1], v[28:29]
	v_fma_f64 v[16:17], v[22:23], s[20:21], -v[28:29]
	v_fma_f64 v[34:35], v[34:35], s[24:25], v[0:1]
	v_fma_f64 v[42:43], v[42:43], s[24:25], v[2:3]
	v_add_f64 v[8:9], v[10:11], v[34:35]
	v_add_f64 v[28:29], v[20:21], v[34:35]
	;; [unrolled: 1-line block ×3, first 2 shown]
	v_fma_f64 v[38:39], v[52:53], s[2:3], v[4:5]
	v_fma_f64 v[4:5], v[48:49], s[4:5], -v[46:47]
	v_add_f64 v[16:17], v[16:17], v[34:35]
	v_fma_f64 v[54:55], v[50:51], s[2:3], v[4:5]
	v_add_f64 v[4:5], v[8:9], -v[38:39]
	v_add_f64 v[8:9], v[38:39], v[8:9]
	v_add_f64 v[38:39], v[18:19], -v[14:15]
	v_mul_f64 v[14:15], v[48:49], s[4:5]
	v_fma_f64 v[18:19], v[24:25], s[20:21], -v[32:33]
	v_add_f64 v[6:7], v[54:55], v[10:11]
	v_add_f64 v[10:11], v[10:11], -v[54:55]
	v_fma_f64 v[12:13], v[38:39], s[22:23], -v[12:13]
	v_fma_f64 v[14:15], v[36:37], s[22:23], -v[14:15]
	v_add_f64 v[18:19], v[18:19], v[42:43]
	v_fma_f64 v[22:23], v[52:53], s[2:3], v[12:13]
	v_fma_f64 v[24:25], v[50:51], s[2:3], v[14:15]
	v_add_f64 v[12:13], v[22:23], v[16:17]
	v_add_f64 v[14:15], v[18:19], -v[24:25]
	v_add_f64 v[18:19], v[24:25], v[18:19]
	v_fma_f64 v[24:25], v[38:39], s[12:13], v[44:45]
	v_add_f64 v[16:17], v[16:17], -v[22:23]
	v_fma_f64 v[22:23], v[26:27], s[0:1], v[32:33]
	v_fma_f64 v[26:27], v[36:37], s[12:13], v[46:47]
	v_fma_f64 v[24:25], v[52:53], s[2:3], v[24:25]
	v_add_f64 v[30:31], v[22:23], v[42:43]
	v_fma_f64 v[26:27], v[50:51], s[2:3], v[26:27]
	v_add_f64 v[20:21], v[24:25], v[28:29]
	v_add_f64 v[24:25], v[28:29], -v[24:25]
	buffer_load_dword v28, off, s[48:51], 0 offset:580 ; 4-byte Folded Reload
	v_add_f64 v[22:23], v[30:31], -v[26:27]
	v_add_f64 v[26:27], v[26:27], v[30:31]
	s_waitcnt vmcnt(0)
	ds_write_b128 v28, v[0:3]
	ds_write_b128 v28, v[20:23] offset:208
	ds_write_b128 v28, v[12:15] offset:416
	;; [unrolled: 1-line block ×6, first 2 shown]
	s_waitcnt lgkmcnt(0)
	s_barrier
	buffer_gl0_inv
	ds_read_b128 v[0:3], v132 offset:4368
	ds_read_b128 v[4:7], v132 offset:2912
	s_waitcnt lgkmcnt(1)
	v_mul_f64 v[8:9], v[126:127], v[2:3]
	v_fma_f64 v[32:33], v[124:125], v[0:1], v[8:9]
	v_mul_f64 v[0:1], v[126:127], v[0:1]
	v_fma_f64 v[34:35], v[124:125], v[2:3], -v[0:1]
	ds_read_b128 v[0:3], v132 offset:5824
	ds_read_b128 v[8:11], v132 offset:7280
	s_waitcnt lgkmcnt(1)
	v_mul_f64 v[12:13], v[126:127], v[2:3]
	v_fma_f64 v[36:37], v[124:125], v[0:1], v[12:13]
	v_mul_f64 v[0:1], v[126:127], v[0:1]
	v_fma_f64 v[38:39], v[124:125], v[2:3], -v[0:1]
	;; [unrolled: 7-line block ×3, first 2 shown]
	s_waitcnt lgkmcnt(0)
	v_mul_f64 v[0:1], v[122:123], v[14:15]
	v_fma_f64 v[44:45], v[120:121], v[12:13], v[0:1]
	v_mul_f64 v[0:1], v[122:123], v[12:13]
	v_fma_f64 v[46:47], v[120:121], v[14:15], -v[0:1]
	ds_read_b128 v[0:3], v132 offset:13104
	ds_read_b128 v[12:15], v132 offset:11648
	s_waitcnt lgkmcnt(1)
	v_mul_f64 v[16:17], v[118:119], v[2:3]
	v_fma_f64 v[48:49], v[116:117], v[0:1], v[16:17]
	v_mul_f64 v[0:1], v[118:119], v[0:1]
	v_fma_f64 v[50:51], v[116:117], v[2:3], -v[0:1]
	ds_read_b128 v[0:3], v132 offset:14560
	ds_read_b128 v[16:19], v132 offset:16016
	;; [unrolled: 7-line block ×3, first 2 shown]
	s_waitcnt lgkmcnt(1)
	v_mul_f64 v[24:25], v[106:107], v[2:3]
	v_fma_f64 v[56:57], v[104:105], v[0:1], v[24:25]
	v_mul_f64 v[0:1], v[106:107], v[0:1]
	v_fma_f64 v[58:59], v[104:105], v[2:3], -v[0:1]
	s_waitcnt lgkmcnt(0)
	v_mul_f64 v[0:1], v[106:107], v[22:23]
	v_fma_f64 v[60:61], v[104:105], v[20:21], v[0:1]
	v_mul_f64 v[0:1], v[106:107], v[20:21]
	v_add_f64 v[114:115], v[52:53], v[60:61]
	v_fma_f64 v[62:63], v[104:105], v[22:23], -v[0:1]
	ds_read_b128 v[0:3], v132 offset:21840
	ds_read_b128 v[20:23], v132 offset:20384
	s_waitcnt lgkmcnt(1)
	v_mul_f64 v[24:25], v[166:167], v[2:3]
	v_add_f64 v[122:123], v[54:55], v[62:63]
	v_fma_f64 v[64:65], v[164:165], v[0:1], v[24:25]
	v_mul_f64 v[0:1], v[166:167], v[0:1]
	v_fma_f64 v[66:67], v[164:165], v[2:3], -v[0:1]
	ds_read_b128 v[0:3], v132 offset:23296
	ds_read_b128 v[24:27], v132 offset:24752
	s_waitcnt lgkmcnt(1)
	v_mul_f64 v[28:29], v[166:167], v[2:3]
	v_fma_f64 v[68:69], v[164:165], v[0:1], v[28:29]
	v_mul_f64 v[0:1], v[166:167], v[0:1]
	v_fma_f64 v[70:71], v[164:165], v[2:3], -v[0:1]
	ds_read_b128 v[0:3], v132 offset:26208
	ds_read_b128 v[28:31], v132 offset:27664
	s_waitcnt lgkmcnt(1)
	v_mul_f64 v[72:73], v[150:151], v[2:3]
	v_add_f64 v[120:121], v[46:47], v[70:71]
	v_fma_f64 v[72:73], v[148:149], v[0:1], v[72:73]
	v_mul_f64 v[0:1], v[150:151], v[0:1]
	v_fma_f64 v[74:75], v[148:149], v[2:3], -v[0:1]
	s_waitcnt lgkmcnt(0)
	v_mul_f64 v[0:1], v[150:151], v[30:31]
	v_fma_f64 v[76:77], v[148:149], v[28:29], v[0:1]
	v_mul_f64 v[0:1], v[150:151], v[28:29]
	v_add_f64 v[28:29], v[42:43], -v[66:67]
	v_fma_f64 v[78:79], v[148:149], v[30:31], -v[0:1]
	v_mul_f64 v[0:1], v[206:207], v[10:11]
	v_add_f64 v[30:31], v[58:59], -v[50:51]
	v_add_f64 v[118:119], v[38:39], v[78:79]
	v_fma_f64 v[80:81], v[204:205], v[8:9], v[0:1]
	v_mul_f64 v[0:1], v[206:207], v[8:9]
	v_add_f64 v[124:125], v[120:121], v[118:119]
	v_fma_f64 v[82:83], v[204:205], v[10:11], -v[0:1]
	v_mul_f64 v[0:1], v[202:203], v[14:15]
	v_add_f64 v[124:125], v[122:123], v[124:125]
	v_fma_f64 v[84:85], v[200:201], v[12:13], v[0:1]
	v_mul_f64 v[0:1], v[202:203], v[12:13]
	v_add_f64 v[12:13], v[40:41], v[64:65]
	v_add_f64 v[40:41], v[40:41], -v[64:65]
	v_fma_f64 v[86:87], v[200:201], v[14:15], -v[0:1]
	v_mul_f64 v[0:1], v[214:215], v[26:27]
	v_fma_f64 v[88:89], v[212:213], v[24:25], v[0:1]
	v_mul_f64 v[0:1], v[214:215], v[24:25]
	v_add_f64 v[24:25], v[34:35], v[74:75]
	v_add_f64 v[34:35], v[34:35], -v[74:75]
	v_add_f64 v[128:129], v[84:85], v[88:89]
	v_fma_f64 v[90:91], v[212:213], v[26:27], -v[0:1]
	ds_read_b128 v[0:3], v132 offset:29120
	v_add_f64 v[26:27], v[50:51], v[58:59]
	v_add_f64 v[50:51], v[28:29], -v[34:35]
	s_waitcnt lgkmcnt(0)
	v_mul_f64 v[8:9], v[210:211], v[2:3]
	v_add_f64 v[137:138], v[86:87], v[90:91]
	v_fma_f64 v[92:93], v[208:209], v[0:1], v[8:9]
	v_mul_f64 v[0:1], v[210:211], v[0:1]
	v_add_f64 v[126:127], v[80:81], v[92:93]
	v_fma_f64 v[94:95], v[208:209], v[2:3], -v[0:1]
	v_mul_f64 v[0:1], v[198:199], v[18:19]
	v_add_f64 v[133:134], v[128:129], v[126:127]
	v_add_f64 v[135:136], v[82:83], v[94:95]
	v_fma_f64 v[96:97], v[196:197], v[16:17], v[0:1]
	v_mul_f64 v[0:1], v[198:199], v[16:17]
	v_add_f64 v[16:17], v[42:43], v[66:67]
	v_add_f64 v[42:43], v[56:57], -v[48:49]
	v_add_f64 v[141:142], v[137:138], v[135:136]
	v_fma_f64 v[98:99], v[196:197], v[18:19], -v[0:1]
	v_mul_f64 v[0:1], v[194:195], v[22:23]
	v_add_f64 v[64:65], v[26:27], -v[16:17]
	v_add_f64 v[66:67], v[16:17], -v[24:25]
	v_fma_f64 v[100:101], v[192:193], v[20:21], v[0:1]
	v_mul_f64 v[0:1], v[194:195], v[20:21]
	v_add_f64 v[20:21], v[32:33], v[72:73]
	v_add_f64 v[32:33], v[32:33], -v[72:73]
	v_add_f64 v[130:131], v[96:97], v[100:101]
	v_fma_f64 v[102:103], v[192:193], v[22:23], -v[0:1]
	v_add_f64 v[22:23], v[48:49], v[56:57]
	v_add_f64 v[0:1], v[12:13], v[20:21]
	v_add_f64 v[48:49], v[30:31], -v[28:29]
	v_add_f64 v[28:29], v[30:31], v[28:29]
	v_add_f64 v[58:59], v[12:13], -v[20:21]
	v_add_f64 v[30:31], v[34:35], -v[30:31]
	v_add_f64 v[133:134], v[130:131], v[133:134]
	v_add_f64 v[139:140], v[98:99], v[102:103]
	v_add_f64 v[56:57], v[22:23], -v[12:13]
	v_add_f64 v[14:15], v[22:23], v[0:1]
	v_add_f64 v[0:1], v[16:17], v[24:25]
	v_add_f64 v[20:21], v[20:21], -v[22:23]
	v_mul_f64 v[48:49], v[48:49], s[14:15]
	v_add_f64 v[16:17], v[42:43], -v[40:41]
	v_add_f64 v[28:29], v[28:29], v[34:35]
	v_add_f64 v[22:23], v[24:25], -v[26:27]
	v_add_f64 v[4:5], v[4:5], v[133:134]
	v_add_f64 v[141:142], v[139:140], v[141:142]
	v_mul_f64 v[12:13], v[56:57], s[0:1]
	v_add_f64 v[18:19], v[26:27], v[0:1]
	ds_read_b128 v[0:3], v132
	ds_read_b128 v[8:11], v132 offset:1456
	v_mul_f64 v[34:35], v[20:21], s[16:17]
	v_mul_f64 v[20:21], v[50:51], s[4:5]
	v_mul_f64 v[104:105], v[16:17], s[14:15]
	s_waitcnt lgkmcnt(0)
	s_barrier
	buffer_gl0_inv
	v_add_f64 v[6:7], v[6:7], v[141:142]
	v_add_f64 v[0:1], v[0:1], v[14:15]
	v_fma_f64 v[12:13], v[58:59], s[18:19], -v[12:13]
	v_add_f64 v[2:3], v[2:3], v[18:19]
	v_add_f64 v[10:11], v[10:11], v[124:125]
	v_fma_f64 v[24:25], v[58:59], s[20:21], -v[34:35]
	v_fma_f64 v[20:21], v[30:31], s[22:23], -v[20:21]
	v_fma_f64 v[34:35], v[56:57], s[0:1], v[34:35]
	v_fma_f64 v[30:31], v[30:31], s[12:13], v[48:49]
	v_add_f64 v[58:59], v[122:123], -v[120:121]
	v_add_f64 v[56:57], v[120:121], -v[118:119]
	v_fma_f64 v[72:73], v[14:15], s[24:25], v[0:1]
	v_mul_f64 v[14:15], v[64:65], s[0:1]
	v_fma_f64 v[74:75], v[18:19], s[24:25], v[2:3]
	v_add_f64 v[18:19], v[42:43], v[40:41]
	v_add_f64 v[40:41], v[40:41], -v[32:33]
	v_add_f64 v[16:17], v[12:13], v[72:73]
	v_fma_f64 v[12:13], v[50:51], s[4:5], -v[48:49]
	v_fma_f64 v[14:15], v[66:67], s[18:19], -v[14:15]
	v_add_f64 v[106:107], v[18:19], v[32:33]
	v_add_f64 v[32:33], v[32:33], -v[42:43]
	v_mul_f64 v[42:43], v[22:23], s[16:17]
	v_mul_f64 v[22:23], v[40:41], s[4:5]
	v_add_f64 v[24:25], v[24:25], v[72:73]
	v_add_f64 v[34:35], v[34:35], v[72:73]
	v_fma_f64 v[108:109], v[28:29], s[2:3], v[12:13]
	v_fma_f64 v[12:13], v[40:41], s[4:5], -v[104:105]
	v_fma_f64 v[40:41], v[28:29], s[2:3], v[20:21]
	v_add_f64 v[18:19], v[14:15], v[74:75]
	v_fma_f64 v[26:27], v[66:67], s[20:21], -v[42:43]
	v_fma_f64 v[22:23], v[32:33], s[22:23], -v[22:23]
	v_fma_f64 v[32:33], v[32:33], s[12:13], v[104:105]
	v_fma_f64 v[66:67], v[124:125], s[24:25], v[10:11]
	;; [unrolled: 1-line block ×3, first 2 shown]
	v_add_f64 v[20:21], v[40:41], v[24:25]
	v_add_f64 v[24:25], v[24:25], -v[40:41]
	v_fma_f64 v[40:41], v[64:65], s[0:1], v[42:43]
	v_add_f64 v[12:13], v[16:17], -v[108:109]
	v_add_f64 v[16:17], v[108:109], v[16:17]
	v_add_f64 v[108:109], v[36:37], v[76:77]
	v_fma_f64 v[42:43], v[28:29], s[2:3], v[30:31]
	v_fma_f64 v[48:49], v[106:107], s[2:3], v[32:33]
	v_add_f64 v[26:27], v[26:27], v[74:75]
	v_fma_f64 v[50:51], v[106:107], s[2:3], v[22:23]
	v_add_f64 v[14:15], v[110:111], v[18:19]
	v_add_f64 v[18:19], v[18:19], -v[110:111]
	v_add_f64 v[110:111], v[44:45], v[68:69]
	v_add_f64 v[40:41], v[40:41], v[74:75]
	;; [unrolled: 1-line block ×3, first 2 shown]
	v_add_f64 v[32:33], v[34:35], -v[42:43]
	v_add_f64 v[42:43], v[44:45], -v[68:69]
	v_add_f64 v[22:23], v[26:27], -v[50:51]
	v_add_f64 v[26:27], v[50:51], v[26:27]
	v_add_f64 v[44:45], v[60:61], -v[52:53]
	v_add_f64 v[50:51], v[38:39], -v[78:79]
	v_add_f64 v[116:117], v[110:111], v[108:109]
	v_add_f64 v[30:31], v[40:41], -v[48:49]
	v_add_f64 v[34:35], v[48:49], v[40:41]
	v_add_f64 v[40:41], v[46:47], -v[70:71]
	v_add_f64 v[46:47], v[62:63], -v[54:55]
	;; [unrolled: 1-line block ×6, first 2 shown]
	v_add_f64 v[68:69], v[44:45], v[42:43]
	v_add_f64 v[116:117], v[114:115], v[116:117]
	v_add_f64 v[60:61], v[40:41], -v[50:51]
	v_add_f64 v[36:37], v[46:47], -v[40:41]
	v_add_f64 v[38:39], v[46:47], v[40:41]
	v_mul_f64 v[40:41], v[58:59], s[0:1]
	v_add_f64 v[72:73], v[42:43], -v[48:49]
	v_add_f64 v[104:105], v[48:49], -v[44:45]
	;; [unrolled: 1-line block ×3, first 2 shown]
	v_mul_f64 v[70:71], v[70:71], s[14:15]
	v_add_f64 v[68:69], v[68:69], v[48:49]
	v_add_f64 v[8:9], v[8:9], v[116:117]
	v_mul_f64 v[44:45], v[60:61], s[4:5]
	v_mul_f64 v[62:63], v[36:37], s[14:15]
	;; [unrolled: 1-line block ×3, first 2 shown]
	v_fma_f64 v[40:41], v[56:57], s[18:19], -v[40:41]
	v_add_f64 v[74:75], v[38:39], v[50:51]
	v_mul_f64 v[46:47], v[72:73], s[4:5]
	v_fma_f64 v[64:65], v[116:117], s[24:25], v[8:9]
	v_fma_f64 v[44:45], v[106:107], s[22:23], -v[44:45]
	v_fma_f64 v[36:37], v[52:53], s[18:19], -v[36:37]
	v_add_f64 v[76:77], v[40:41], v[66:67]
	v_fma_f64 v[46:47], v[104:105], s[22:23], -v[46:47]
	v_add_f64 v[42:43], v[36:37], v[64:65]
	v_fma_f64 v[36:37], v[60:61], s[4:5], -v[62:63]
	v_fma_f64 v[40:41], v[74:75], s[2:3], v[36:37]
	v_fma_f64 v[36:37], v[72:73], s[4:5], -v[70:71]
	v_add_f64 v[72:73], v[82:83], -v[94:95]
	v_add_f64 v[82:83], v[137:138], -v[135:136]
	v_fma_f64 v[78:79], v[68:69], s[2:3], v[36:37]
	v_add_f64 v[36:37], v[42:43], -v[40:41]
	v_add_f64 v[40:41], v[40:41], v[42:43]
	v_add_f64 v[38:39], v[78:79], v[76:77]
	v_add_f64 v[42:43], v[76:77], -v[78:79]
	v_add_f64 v[76:77], v[108:109], -v[114:115]
	;; [unrolled: 1-line block ×3, first 2 shown]
	v_mul_f64 v[76:77], v[76:77], s[16:17]
	v_mul_f64 v[78:79], v[78:79], s[16:17]
	v_fma_f64 v[48:49], v[52:53], s[20:21], -v[76:77]
	v_fma_f64 v[50:51], v[56:57], s[20:21], -v[78:79]
	v_fma_f64 v[52:53], v[74:75], s[2:3], v[44:45]
	v_fma_f64 v[56:57], v[68:69], s[2:3], v[46:47]
	v_add_f64 v[48:49], v[48:49], v[64:65]
	v_add_f64 v[50:51], v[50:51], v[66:67]
	;; [unrolled: 1-line block ×3, first 2 shown]
	v_add_f64 v[46:47], v[50:51], -v[56:57]
	v_add_f64 v[48:49], v[48:49], -v[52:53]
	v_add_f64 v[50:51], v[56:57], v[50:51]
	v_fma_f64 v[52:53], v[54:55], s[0:1], v[76:77]
	v_fma_f64 v[54:55], v[58:59], s[0:1], v[78:79]
	;; [unrolled: 1-line block ×4, first 2 shown]
	v_add_f64 v[70:71], v[100:101], -v[96:97]
	v_add_f64 v[76:77], v[130:131], -v[128:129]
	;; [unrolled: 1-line block ×3, first 2 shown]
	v_add_f64 v[60:61], v[52:53], v[64:65]
	v_add_f64 v[62:63], v[54:55], v[66:67]
	v_fma_f64 v[56:57], v[74:75], s[2:3], v[56:57]
	v_fma_f64 v[58:59], v[68:69], s[2:3], v[58:59]
	v_add_f64 v[68:69], v[102:103], -v[98:99]
	v_add_f64 v[74:75], v[80:81], -v[92:93]
	v_add_f64 v[80:81], v[139:140], -v[137:138]
	v_add_f64 v[52:53], v[56:57], v[60:61]
	v_add_f64 v[54:55], v[62:63], -v[58:59]
	v_add_f64 v[56:57], v[60:61], -v[56:57]
	v_add_f64 v[58:59], v[58:59], v[62:63]
	ds_write_b128 v132, v[0:3]
	ds_write_b128 v132, v[28:31] offset:1456
	ds_write_b128 v132, v[20:23] offset:2912
	;; [unrolled: 1-line block ×13, first 2 shown]
	buffer_load_dword v0, off, s[48:51], 0 offset:784 ; 4-byte Folded Reload
	v_add_f64 v[60:61], v[86:87], -v[90:91]
	v_add_f64 v[62:63], v[84:85], -v[88:89]
	v_mul_f64 v[66:67], v[80:81], s[0:1]
	v_fma_f64 v[88:89], v[133:134], s[24:25], v[4:5]
	v_fma_f64 v[90:91], v[141:142], s[24:25], v[6:7]
	v_add_f64 v[104:105], v[74:75], -v[70:71]
	v_add_f64 v[106:107], v[72:73], -v[68:69]
	;; [unrolled: 1-line block ×4, first 2 shown]
	v_add_f64 v[60:61], v[68:69], v[60:61]
	v_add_f64 v[92:93], v[70:71], -v[62:63]
	v_add_f64 v[94:95], v[70:71], v[62:63]
	v_add_f64 v[96:97], v[62:63], -v[74:75]
	v_fma_f64 v[66:67], v[82:83], s[18:19], -v[66:67]
	v_mul_f64 v[86:87], v[64:65], s[14:15]
	v_mul_f64 v[64:65], v[76:77], s[0:1]
	v_add_f64 v[98:99], v[60:61], v[72:73]
	v_mul_f64 v[92:93], v[92:93], s[14:15]
	v_add_f64 v[94:95], v[94:95], v[74:75]
	;; [unrolled: 2-line block ×3, first 2 shown]
	v_mul_f64 v[70:71], v[96:97], s[4:5]
	v_fma_f64 v[60:61], v[84:85], s[4:5], -v[86:87]
	v_fma_f64 v[64:65], v[78:79], s[18:19], -v[64:65]
	;; [unrolled: 1-line block ×4, first 2 shown]
	v_fma_f64 v[100:101], v[98:99], s[2:3], v[60:61]
	v_fma_f64 v[60:61], v[96:97], s[4:5], -v[92:93]
	v_add_f64 v[64:65], v[64:65], v[88:89]
	s_mul_i32 s4, s8, 0x93
	v_fma_f64 v[102:103], v[94:95], s[2:3], v[60:61]
	v_add_f64 v[60:61], v[64:65], -v[100:101]
	v_add_f64 v[64:65], v[100:101], v[64:65]
	v_add_f64 v[100:101], v[126:127], -v[130:131]
	v_add_f64 v[62:63], v[102:103], v[66:67]
	v_add_f64 v[66:67], v[66:67], -v[102:103]
	v_add_f64 v[102:103], v[135:136], -v[139:140]
	v_mul_f64 v[100:101], v[100:101], s[16:17]
	v_mul_f64 v[102:103], v[102:103], s[16:17]
	v_fma_f64 v[72:73], v[78:79], s[20:21], -v[100:101]
	v_fma_f64 v[78:79], v[98:99], s[2:3], v[68:69]
	v_fma_f64 v[76:77], v[76:77], s[0:1], v[100:101]
	v_fma_f64 v[74:75], v[82:83], s[20:21], -v[102:103]
	v_add_f64 v[72:73], v[72:73], v[88:89]
	v_fma_f64 v[82:83], v[94:95], s[2:3], v[70:71]
	v_add_f64 v[84:85], v[76:77], v[88:89]
	v_add_f64 v[74:75], v[74:75], v[90:91]
	;; [unrolled: 1-line block ×3, first 2 shown]
	v_add_f64 v[72:73], v[72:73], -v[78:79]
	v_fma_f64 v[78:79], v[80:81], s[0:1], v[102:103]
	v_fma_f64 v[80:81], v[106:107], s[12:13], v[86:87]
	s_mov_b32 s0, 0xe8584caa
	s_mov_b32 s1, 0xbfebb67a
	v_add_f64 v[70:71], v[74:75], -v[82:83]
	v_add_f64 v[74:75], v[82:83], v[74:75]
	v_fma_f64 v[82:83], v[104:105], s[12:13], v[92:93]
	v_add_f64 v[86:87], v[78:79], v[90:91]
	v_fma_f64 v[80:81], v[98:99], s[2:3], v[80:81]
	v_fma_f64 v[82:83], v[94:95], s[2:3], v[82:83]
	s_mov_b32 s3, 0x3febb67a
	v_add_f64 v[76:77], v[80:81], v[84:85]
	v_add_f64 v[80:81], v[84:85], -v[80:81]
	s_mov_b32 s2, s0
	v_add_f64 v[78:79], v[86:87], -v[82:83]
	v_add_f64 v[82:83], v[82:83], v[86:87]
	s_waitcnt vmcnt(0)
	ds_write_b128 v0, v[4:7] offset:20384
	ds_write_b128 v0, v[76:79] offset:21840
	;; [unrolled: 1-line block ×7, first 2 shown]
	s_waitcnt lgkmcnt(0)
	s_barrier
	buffer_gl0_inv
	ds_read_b128 v[0:3], v132 offset:10192
	ds_read_b128 v[4:7], v132 offset:8736
	s_clause 0x3
	buffer_load_dword v12, off, s[48:51], 0 offset:556
	buffer_load_dword v13, off, s[48:51], 0 offset:560
	;; [unrolled: 1-line block ×4, first 2 shown]
	s_waitcnt vmcnt(0) lgkmcnt(1)
	v_mul_f64 v[8:9], v[14:15], v[2:3]
	v_mul_f64 v[10:11], v[14:15], v[0:1]
	v_fma_f64 v[16:17], v[12:13], v[0:1], v[8:9]
	v_fma_f64 v[18:19], v[12:13], v[2:3], -v[10:11]
	ds_read_b128 v[0:3], v132 offset:20384
	ds_read_b128 v[8:11], v132 offset:21840
	s_clause 0x3
	buffer_load_dword v22, off, s[48:51], 0 offset:540
	buffer_load_dword v23, off, s[48:51], 0 offset:544
	;; [unrolled: 1-line block ×4, first 2 shown]
	s_waitcnt vmcnt(0) lgkmcnt(1)
	v_mul_f64 v[12:13], v[24:25], v[2:3]
	v_fma_f64 v[20:21], v[22:23], v[0:1], v[12:13]
	v_mul_f64 v[0:1], v[24:25], v[0:1]
	v_fma_f64 v[22:23], v[22:23], v[2:3], -v[0:1]
	ds_read_b128 v[0:3], v132 offset:11648
	ds_read_b128 v[12:15], v132 offset:13104
	s_clause 0x7
	buffer_load_dword v26, off, s[48:51], 0 offset:608
	buffer_load_dword v27, off, s[48:51], 0 offset:612
	;; [unrolled: 1-line block ×8, first 2 shown]
	s_waitcnt vmcnt(4) lgkmcnt(1)
	v_mul_f64 v[24:25], v[28:29], v[2:3]
	v_fma_f64 v[24:25], v[26:27], v[0:1], v[24:25]
	v_mul_f64 v[0:1], v[28:29], v[0:1]
	v_fma_f64 v[26:27], v[26:27], v[2:3], -v[0:1]
	s_waitcnt vmcnt(0)
	v_mul_f64 v[0:1], v[32:33], v[10:11]
	v_fma_f64 v[28:29], v[30:31], v[8:9], v[0:1]
	v_mul_f64 v[0:1], v[32:33], v[8:9]
	v_fma_f64 v[30:31], v[30:31], v[10:11], -v[0:1]
	s_clause 0x3
	buffer_load_dword v8, off, s[48:51], 0 offset:640
	buffer_load_dword v9, off, s[48:51], 0 offset:644
	;; [unrolled: 1-line block ×4, first 2 shown]
	s_waitcnt vmcnt(0) lgkmcnt(0)
	v_mul_f64 v[0:1], v[10:11], v[14:15]
	v_mul_f64 v[2:3], v[10:11], v[12:13]
	v_fma_f64 v[36:37], v[8:9], v[12:13], v[0:1]
	v_fma_f64 v[38:39], v[8:9], v[14:15], -v[2:3]
	ds_read_b128 v[0:3], v132 offset:23296
	ds_read_b128 v[8:11], v132 offset:24752
	s_clause 0x3
	buffer_load_dword v32, off, s[48:51], 0 offset:624
	buffer_load_dword v33, off, s[48:51], 0 offset:628
	;; [unrolled: 1-line block ×4, first 2 shown]
	s_waitcnt vmcnt(0) lgkmcnt(1)
	v_mul_f64 v[12:13], v[34:35], v[2:3]
	v_fma_f64 v[40:41], v[32:33], v[0:1], v[12:13]
	v_mul_f64 v[0:1], v[34:35], v[0:1]
	v_fma_f64 v[42:43], v[32:33], v[2:3], -v[0:1]
	ds_read_b128 v[0:3], v132 offset:14560
	ds_read_b128 v[12:15], v132 offset:16016
	s_clause 0x3
	buffer_load_dword v46, off, s[48:51], 0 offset:672
	buffer_load_dword v47, off, s[48:51], 0 offset:676
	;; [unrolled: 1-line block ×4, first 2 shown]
	s_waitcnt vmcnt(0) lgkmcnt(1)
	v_mul_f64 v[32:33], v[48:49], v[2:3]
	v_fma_f64 v[44:45], v[46:47], v[0:1], v[32:33]
	s_clause 0x3
	buffer_load_dword v32, off, s[48:51], 0 offset:656
	buffer_load_dword v33, off, s[48:51], 0 offset:660
	;; [unrolled: 1-line block ×4, first 2 shown]
	v_mul_f64 v[0:1], v[48:49], v[0:1]
	v_fma_f64 v[46:47], v[46:47], v[2:3], -v[0:1]
	s_waitcnt vmcnt(0)
	v_mul_f64 v[0:1], v[34:35], v[10:11]
	v_fma_f64 v[48:49], v[32:33], v[8:9], v[0:1]
	v_mul_f64 v[0:1], v[34:35], v[8:9]
	v_fma_f64 v[50:51], v[32:33], v[10:11], -v[0:1]
	s_clause 0x3
	buffer_load_dword v8, off, s[48:51], 0 offset:704
	buffer_load_dword v9, off, s[48:51], 0 offset:708
	;; [unrolled: 1-line block ×4, first 2 shown]
	s_waitcnt vmcnt(0) lgkmcnt(0)
	v_mul_f64 v[0:1], v[10:11], v[14:15]
	v_mul_f64 v[2:3], v[10:11], v[12:13]
	v_fma_f64 v[60:61], v[8:9], v[12:13], v[0:1]
	v_fma_f64 v[62:63], v[8:9], v[14:15], -v[2:3]
	ds_read_b128 v[0:3], v132 offset:26208
	ds_read_b128 v[8:11], v132 offset:27664
	s_clause 0x3
	buffer_load_dword v32, off, s[48:51], 0 offset:688
	buffer_load_dword v33, off, s[48:51], 0 offset:692
	;; [unrolled: 1-line block ×4, first 2 shown]
	s_waitcnt vmcnt(0) lgkmcnt(1)
	v_mul_f64 v[12:13], v[34:35], v[2:3]
	v_fma_f64 v[64:65], v[32:33], v[0:1], v[12:13]
	v_mul_f64 v[0:1], v[34:35], v[0:1]
	v_add_f64 v[84:85], v[60:61], v[64:65]
	v_fma_f64 v[66:67], v[32:33], v[2:3], -v[0:1]
	ds_read_b128 v[0:3], v132 offset:17472
	ds_read_b128 v[12:15], v132 offset:18928
	s_clause 0x3
	buffer_load_dword v52, off, s[48:51], 0 offset:736
	buffer_load_dword v53, off, s[48:51], 0 offset:740
	;; [unrolled: 1-line block ×4, first 2 shown]
	v_add_f64 v[86:87], v[62:63], v[66:67]
	s_waitcnt vmcnt(0) lgkmcnt(1)
	v_mul_f64 v[32:33], v[54:55], v[2:3]
	v_fma_f64 v[68:69], v[52:53], v[0:1], v[32:33]
	s_clause 0x3
	buffer_load_dword v32, off, s[48:51], 0 offset:720
	buffer_load_dword v33, off, s[48:51], 0 offset:724
	;; [unrolled: 1-line block ×4, first 2 shown]
	v_mul_f64 v[0:1], v[54:55], v[0:1]
	v_add_f64 v[54:55], v[38:39], v[42:43]
	v_fma_f64 v[70:71], v[52:53], v[2:3], -v[0:1]
	v_add_f64 v[52:53], v[36:37], v[40:41]
	s_waitcnt vmcnt(0)
	v_mul_f64 v[0:1], v[34:35], v[10:11]
	v_fma_f64 v[72:73], v[32:33], v[8:9], v[0:1]
	v_mul_f64 v[0:1], v[34:35], v[8:9]
	v_fma_f64 v[74:75], v[32:33], v[10:11], -v[0:1]
	s_clause 0x3
	buffer_load_dword v8, off, s[48:51], 0 offset:768
	buffer_load_dword v9, off, s[48:51], 0 offset:772
	;; [unrolled: 1-line block ×4, first 2 shown]
	s_waitcnt vmcnt(0) lgkmcnt(0)
	v_mul_f64 v[0:1], v[10:11], v[14:15]
	v_mul_f64 v[2:3], v[10:11], v[12:13]
	v_fma_f64 v[76:77], v[8:9], v[12:13], v[0:1]
	v_fma_f64 v[78:79], v[8:9], v[14:15], -v[2:3]
	ds_read_b128 v[0:3], v132 offset:29120
	s_clause 0x3
	buffer_load_dword v12, off, s[48:51], 0 offset:752
	buffer_load_dword v13, off, s[48:51], 0 offset:756
	;; [unrolled: 1-line block ×4, first 2 shown]
	s_waitcnt vmcnt(0) lgkmcnt(0)
	v_mul_f64 v[8:9], v[14:15], v[2:3]
	v_mul_f64 v[10:11], v[14:15], v[0:1]
	v_fma_f64 v[80:81], v[12:13], v[0:1], v[8:9]
	v_fma_f64 v[82:83], v[12:13], v[2:3], -v[10:11]
	v_add_f64 v[12:13], v[16:17], v[20:21]
	ds_read_b128 v[0:3], v132
	ds_read_b128 v[8:11], v132 offset:1456
	s_waitcnt lgkmcnt(1)
	v_fma_f64 v[14:15], v[12:13], -0.5, v[0:1]
	v_add_f64 v[12:13], v[18:19], v[22:23]
	v_add_f64 v[0:1], v[0:1], v[16:17]
	v_fma_f64 v[32:33], v[12:13], -0.5, v[2:3]
	v_add_f64 v[2:3], v[2:3], v[18:19]
	v_add_f64 v[18:19], v[18:19], -v[22:23]
	v_add_f64 v[0:1], v[0:1], v[20:21]
	v_add_f64 v[20:21], v[16:17], -v[20:21]
	v_add_f64 v[2:3], v[2:3], v[22:23]
	v_fma_f64 v[12:13], v[18:19], s[0:1], v[14:15]
	v_fma_f64 v[16:17], v[18:19], s[2:3], v[14:15]
	;; [unrolled: 1-line block ×4, first 2 shown]
	v_add_f64 v[20:21], v[24:25], v[28:29]
	s_waitcnt lgkmcnt(0)
	v_fma_f64 v[22:23], v[20:21], -0.5, v[8:9]
	v_add_f64 v[20:21], v[26:27], v[30:31]
	v_add_f64 v[8:9], v[8:9], v[24:25]
	v_fma_f64 v[32:33], v[20:21], -0.5, v[10:11]
	v_add_f64 v[10:11], v[10:11], v[26:27]
	v_add_f64 v[26:27], v[26:27], -v[30:31]
	v_add_f64 v[8:9], v[8:9], v[28:29]
	v_add_f64 v[28:29], v[24:25], -v[28:29]
	v_add_f64 v[10:11], v[10:11], v[30:31]
	v_fma_f64 v[20:21], v[26:27], s[0:1], v[22:23]
	v_fma_f64 v[24:25], v[26:27], s[2:3], v[22:23]
	;; [unrolled: 1-line block ×4, first 2 shown]
	ds_read_b128 v[28:31], v132 offset:2912
	ds_read_b128 v[32:35], v132 offset:4368
	s_waitcnt lgkmcnt(1)
	v_fma_f64 v[54:55], v[54:55], -0.5, v[30:31]
	v_add_f64 v[30:31], v[30:31], v[38:39]
	v_fma_f64 v[52:53], v[52:53], -0.5, v[28:29]
	v_add_f64 v[28:29], v[28:29], v[36:37]
	v_add_f64 v[38:39], v[38:39], -v[42:43]
	v_add_f64 v[30:31], v[30:31], v[42:43]
	v_add_f64 v[42:43], v[36:37], -v[40:41]
	v_add_f64 v[28:29], v[28:29], v[40:41]
	v_fma_f64 v[36:37], v[38:39], s[0:1], v[52:53]
	v_fma_f64 v[40:41], v[38:39], s[2:3], v[52:53]
	v_add_f64 v[52:53], v[44:45], v[48:49]
	v_fma_f64 v[38:39], v[42:43], s[2:3], v[54:55]
	v_fma_f64 v[42:43], v[42:43], s[0:1], v[54:55]
	v_add_f64 v[54:55], v[46:47], v[50:51]
	s_waitcnt lgkmcnt(0)
	v_fma_f64 v[52:53], v[52:53], -0.5, v[32:33]
	v_add_f64 v[32:33], v[32:33], v[44:45]
	v_fma_f64 v[54:55], v[54:55], -0.5, v[34:35]
	v_add_f64 v[34:35], v[34:35], v[46:47]
	v_add_f64 v[46:47], v[46:47], -v[50:51]
	v_add_f64 v[32:33], v[32:33], v[48:49]
	v_add_f64 v[34:35], v[34:35], v[50:51]
	v_add_f64 v[50:51], v[44:45], -v[48:49]
	v_fma_f64 v[44:45], v[46:47], s[0:1], v[52:53]
	v_fma_f64 v[48:49], v[46:47], s[2:3], v[52:53]
	;; [unrolled: 1-line block ×4, first 2 shown]
	ds_read_b128 v[52:55], v132 offset:5824
	ds_read_b128 v[56:59], v132 offset:7280
	s_waitcnt lgkmcnt(1)
	v_fma_f64 v[86:87], v[86:87], -0.5, v[54:55]
	v_add_f64 v[54:55], v[54:55], v[62:63]
	v_fma_f64 v[84:85], v[84:85], -0.5, v[52:53]
	v_add_f64 v[52:53], v[52:53], v[60:61]
	v_add_f64 v[62:63], v[62:63], -v[66:67]
	v_add_f64 v[54:55], v[54:55], v[66:67]
	v_add_f64 v[66:67], v[60:61], -v[64:65]
	v_add_f64 v[52:53], v[52:53], v[64:65]
	v_fma_f64 v[60:61], v[62:63], s[0:1], v[84:85]
	v_fma_f64 v[64:65], v[62:63], s[2:3], v[84:85]
	v_add_f64 v[84:85], v[68:69], v[72:73]
	v_fma_f64 v[62:63], v[66:67], s[2:3], v[86:87]
	v_fma_f64 v[66:67], v[66:67], s[0:1], v[86:87]
	v_add_f64 v[86:87], v[70:71], v[74:75]
	s_waitcnt lgkmcnt(0)
	v_fma_f64 v[84:85], v[84:85], -0.5, v[56:57]
	v_add_f64 v[56:57], v[56:57], v[68:69]
	v_fma_f64 v[86:87], v[86:87], -0.5, v[58:59]
	v_add_f64 v[58:59], v[58:59], v[70:71]
	v_add_f64 v[70:71], v[70:71], -v[74:75]
	v_add_f64 v[56:57], v[56:57], v[72:73]
	v_add_f64 v[58:59], v[58:59], v[74:75]
	v_add_f64 v[74:75], v[68:69], -v[72:73]
	v_fma_f64 v[68:69], v[70:71], s[0:1], v[84:85]
	v_fma_f64 v[72:73], v[70:71], s[2:3], v[84:85]
	v_add_f64 v[84:85], v[76:77], v[80:81]
	v_fma_f64 v[70:71], v[74:75], s[2:3], v[86:87]
	v_fma_f64 v[74:75], v[74:75], s[0:1], v[86:87]
	v_add_f64 v[86:87], v[78:79], v[82:83]
	v_fma_f64 v[84:85], v[84:85], -0.5, v[4:5]
	v_add_f64 v[4:5], v[4:5], v[76:77]
	v_fma_f64 v[86:87], v[86:87], -0.5, v[6:7]
	v_add_f64 v[6:7], v[6:7], v[78:79]
	v_add_f64 v[78:79], v[78:79], -v[82:83]
	v_add_f64 v[4:5], v[4:5], v[80:81]
	v_add_f64 v[6:7], v[6:7], v[82:83]
	v_add_f64 v[82:83], v[76:77], -v[80:81]
	v_fma_f64 v[76:77], v[78:79], s[0:1], v[84:85]
	v_fma_f64 v[80:81], v[78:79], s[2:3], v[84:85]
	;; [unrolled: 1-line block ×4, first 2 shown]
	ds_write_b128 v132, v[0:3]
	ds_write_b128 v132, v[12:15] offset:10192
	ds_write_b128 v132, v[16:19] offset:20384
	;; [unrolled: 1-line block ×20, first 2 shown]
	s_waitcnt lgkmcnt(0)
	s_barrier
	buffer_gl0_inv
	ds_read_b128 v[0:3], v132
	ds_read_b128 v[4:7], v132 offset:2352
	ds_read_b128 v[8:11], v132 offset:4704
	s_clause 0x9
	buffer_load_dword v34, off, s[48:51], 0 offset:172
	buffer_load_dword v35, off, s[48:51], 0 offset:176
	;; [unrolled: 1-line block ×10, first 2 shown]
	s_mov_b32 s2, 0xa36ec936
	s_mov_b32 s3, 0x3f4125a4
	s_mul_hi_u32 s1, s8, 0x93
	s_waitcnt vmcnt(6) lgkmcnt(2)
	v_mul_f64 v[16:17], v[36:37], v[2:3]
	v_mul_f64 v[18:19], v[36:37], v[0:1]
	s_waitcnt vmcnt(5)
	v_mov_b32_e32 v30, v12
	s_waitcnt vmcnt(4)
	ds_read_b128 v[12:15], v132 offset:7056
	s_clause 0x4
	buffer_load_dword v36, off, s[48:51], 0 offset:348
	buffer_load_dword v37, off, s[48:51], 0 offset:352
	buffer_load_dword v38, off, s[48:51], 0 offset:356
	buffer_load_dword v39, off, s[48:51], 0 offset:360
	buffer_load_dword v33, off, s[48:51], 0
	s_waitcnt vmcnt(5) lgkmcnt(2)
	v_mul_f64 v[22:23], v[42:43], v[6:7]
	v_mul_f64 v[24:25], v[42:43], v[4:5]
	v_mad_u64_u32 v[20:21], null, s10, v30, 0
	v_fma_f64 v[16:17], v[34:35], v[0:1], v[16:17]
	v_fma_f64 v[18:19], v[34:35], v[2:3], -v[18:19]
	ds_read_b128 v[0:3], v132 offset:9408
	s_clause 0x3
	buffer_load_dword v45, off, s[48:51], 0 offset:332
	buffer_load_dword v46, off, s[48:51], 0 offset:336
	;; [unrolled: 1-line block ×4, first 2 shown]
	v_mad_u64_u32 v[30:31], null, s11, v30, v[21:22]
	v_fma_f64 v[22:23], v[40:41], v[4:5], v[22:23]
	v_fma_f64 v[24:25], v[40:41], v[6:7], -v[24:25]
	v_mov_b32_e32 v21, v30
	v_lshlrev_b64 v[20:21], 4, v[20:21]
	v_mul_f64 v[4:5], v[16:17], s[2:3]
	v_mul_f64 v[6:7], v[18:19], s[2:3]
	;; [unrolled: 1-line block ×4, first 2 shown]
	s_waitcnt vmcnt(5) lgkmcnt(2)
	v_mul_f64 v[26:27], v[38:39], v[10:11]
	v_mul_f64 v[28:29], v[38:39], v[8:9]
	s_waitcnt vmcnt(4)
	v_mad_u64_u32 v[31:32], null, s8, v33, 0
	v_add_co_u32 v39, s0, s6, v20
	v_add_co_ci_u32_e64 v40, s0, s7, v21, s0
	s_mul_i32 s0, s9, 0x93
	v_mov_b32_e32 v30, v32
	s_add_i32 s5, s1, s0
	s_lshl_b64 s[4:5], s[4:5], 4
	v_mad_u64_u32 v[32:33], null, s9, v33, v[30:31]
	s_waitcnt vmcnt(0) lgkmcnt(1)
	v_mul_f64 v[33:34], v[47:48], v[14:15]
	v_fma_f64 v[26:27], v[36:37], v[8:9], v[26:27]
	v_fma_f64 v[28:29], v[36:37], v[10:11], -v[28:29]
	ds_read_b128 v[8:11], v132 offset:11760
	s_clause 0x3
	buffer_load_dword v41, off, s[48:51], 0 offset:316
	buffer_load_dword v42, off, s[48:51], 0 offset:320
	;; [unrolled: 1-line block ×4, first 2 shown]
	v_mul_f64 v[35:36], v[47:48], v[12:13]
	v_lshlrev_b64 v[30:31], 4, v[31:32]
	v_add_co_u32 v30, s0, v39, v30
	v_add_co_ci_u32_e64 v31, s0, v40, v31, s0
	v_add_co_u32 v32, s0, v30, s4
	v_mul_f64 v[20:21], v[26:27], s[2:3]
	v_mul_f64 v[22:23], v[28:29], s[2:3]
	v_fma_f64 v[26:27], v[45:46], v[12:13], v[33:34]
	v_add_co_ci_u32_e64 v33, s0, s5, v31, s0
	v_fma_f64 v[28:29], v[45:46], v[14:15], -v[35:36]
	ds_read_b128 v[12:15], v132 offset:14112
	s_clause 0x3
	buffer_load_dword v52, off, s[48:51], 0 offset:220
	buffer_load_dword v53, off, s[48:51], 0 offset:224
	;; [unrolled: 1-line block ×4, first 2 shown]
	v_add_co_u32 v36, s0, v32, s4
	global_store_dwordx4 v[30:31], v[4:7], off
	v_mul_f64 v[4:5], v[26:27], s[2:3]
	v_mul_f64 v[6:7], v[28:29], s[2:3]
	s_waitcnt vmcnt(4) lgkmcnt(2)
	v_mul_f64 v[37:38], v[43:44], v[2:3]
	v_mul_f64 v[24:25], v[43:44], v[0:1]
	v_fma_f64 v[34:35], v[41:42], v[0:1], v[37:38]
	v_add_co_ci_u32_e64 v37, s0, s5, v33, s0
	v_add_co_u32 v50, s0, v36, s4
	v_fma_f64 v[40:41], v[41:42], v[2:3], -v[24:25]
	ds_read_b128 v[0:3], v132 offset:16464
	global_store_dwordx4 v[32:33], v[16:19], off
	global_store_dwordx4 v[36:37], v[20:23], off
	s_clause 0x3
	buffer_load_dword v56, off, s[48:51], 0 offset:204
	buffer_load_dword v57, off, s[48:51], 0 offset:208
	;; [unrolled: 1-line block ×4, first 2 shown]
	ds_read_b128 v[16:19], v132 offset:18816
	ds_read_b128 v[20:23], v132 offset:21168
	;; [unrolled: 1-line block ×3, first 2 shown]
	v_add_co_ci_u32_e64 v51, s0, s5, v37, s0
	ds_read_b128 v[28:31], v132 offset:25872
	ds_read_b128 v[36:39], v132 offset:28224
	s_clause 0x7
	buffer_load_dword v68, off, s[48:51], 0 offset:188
	buffer_load_dword v69, off, s[48:51], 0 offset:192
	;; [unrolled: 1-line block ×8, first 2 shown]
	s_waitcnt vmcnt(12) lgkmcnt(7)
	v_mul_f64 v[42:43], v[54:55], v[10:11]
	v_mul_f64 v[44:45], v[54:55], v[8:9]
	;; [unrolled: 1-line block ×4, first 2 shown]
	v_fma_f64 v[8:9], v[52:53], v[8:9], v[42:43]
	v_fma_f64 v[10:11], v[52:53], v[10:11], -v[44:45]
	v_add_co_u32 v44, s0, v50, s4
	v_add_co_ci_u32_e64 v45, s0, s5, v51, s0
	s_waitcnt vmcnt(8) lgkmcnt(6)
	v_mul_f64 v[46:47], v[58:59], v[14:15]
	v_mul_f64 v[48:49], v[58:59], v[12:13]
	s_waitcnt vmcnt(4) lgkmcnt(5)
	v_mul_f64 v[40:41], v[70:71], v[2:3]
	v_mul_f64 v[42:43], v[70:71], v[0:1]
	;; [unrolled: 3-line block ×3, first 2 shown]
	s_clause 0x7
	buffer_load_dword v70, off, s[48:51], 0 offset:236
	buffer_load_dword v71, off, s[48:51], 0 offset:240
	;; [unrolled: 1-line block ×8, first 2 shown]
	v_fma_f64 v[12:13], v[56:57], v[12:13], v[46:47]
	v_fma_f64 v[14:15], v[56:57], v[14:15], -v[48:49]
	v_fma_f64 v[16:17], v[74:75], v[16:17], v[52:53]
	v_fma_f64 v[18:19], v[74:75], v[18:19], -v[54:55]
	s_waitcnt vmcnt(4) lgkmcnt(3)
	v_mul_f64 v[46:47], v[72:73], v[22:23]
	s_waitcnt vmcnt(0) lgkmcnt(2)
	v_mul_f64 v[56:57], v[78:79], v[26:27]
	v_mul_f64 v[58:59], v[78:79], v[24:25]
	s_clause 0x3
	buffer_load_dword v78, off, s[48:51], 0 offset:284
	buffer_load_dword v79, off, s[48:51], 0 offset:288
	buffer_load_dword v80, off, s[48:51], 0 offset:292
	buffer_load_dword v81, off, s[48:51], 0 offset:296
	v_mul_f64 v[48:49], v[72:73], v[20:21]
	v_fma_f64 v[20:21], v[70:71], v[20:21], v[46:47]
	v_fma_f64 v[24:25], v[76:77], v[24:25], v[56:57]
	v_fma_f64 v[26:27], v[76:77], v[26:27], -v[58:59]
	v_fma_f64 v[22:23], v[70:71], v[22:23], -v[48:49]
	s_waitcnt vmcnt(0) lgkmcnt(1)
	v_mul_f64 v[60:61], v[80:81], v[30:31]
	v_mul_f64 v[62:63], v[80:81], v[28:29]
	s_clause 0x3
	buffer_load_dword v80, off, s[48:51], 0 offset:300
	buffer_load_dword v81, off, s[48:51], 0 offset:304
	;; [unrolled: 1-line block ×4, first 2 shown]
	global_store_dwordx4 v[50:51], v[4:7], off
	global_store_dwordx4 v[44:45], v[32:35], off
	v_mul_f64 v[4:5], v[8:9], s[2:3]
	v_mul_f64 v[6:7], v[10:11], s[2:3]
	v_fma_f64 v[8:9], v[68:69], v[0:1], v[40:41]
	v_fma_f64 v[10:11], v[68:69], v[2:3], -v[42:43]
	v_add_co_u32 v32, s0, v44, s4
	v_add_co_ci_u32_e64 v33, s0, s5, v45, s0
	v_mul_f64 v[0:1], v[12:13], s[2:3]
	v_mul_f64 v[2:3], v[14:15], s[2:3]
	;; [unrolled: 1-line block ×8, first 2 shown]
	v_fma_f64 v[28:29], v[78:79], v[28:29], v[60:61]
	v_fma_f64 v[30:31], v[78:79], v[30:31], -v[62:63]
	global_store_dwordx4 v[32:33], v[4:7], off
	v_mul_f64 v[8:9], v[8:9], s[2:3]
	v_mul_f64 v[10:11], v[10:11], s[2:3]
	;; [unrolled: 1-line block ×4, first 2 shown]
	s_waitcnt vmcnt(0) lgkmcnt(0)
	v_mul_f64 v[64:65], v[82:83], v[38:39]
	v_mul_f64 v[66:67], v[82:83], v[36:37]
	v_fma_f64 v[34:35], v[80:81], v[36:37], v[64:65]
	v_fma_f64 v[36:37], v[80:81], v[38:39], -v[66:67]
	v_add_co_u32 v38, s0, v32, s4
	v_add_co_ci_u32_e64 v39, s0, s5, v33, s0
	v_add_co_u32 v40, s0, v38, s4
	v_add_co_ci_u32_e64 v41, s0, s5, v39, s0
	global_store_dwordx4 v[38:39], v[0:3], off
	v_add_co_u32 v42, s0, v40, s4
	v_add_co_ci_u32_e64 v43, s0, s5, v41, s0
	global_store_dwordx4 v[40:41], v[8:11], off
	v_mul_f64 v[28:29], v[34:35], s[2:3]
	v_add_co_u32 v34, s0, v42, s4
	v_add_co_ci_u32_e64 v35, s0, s5, v43, s0
	v_mul_f64 v[30:31], v[36:37], s[2:3]
	v_add_co_u32 v4, s0, v34, s4
	v_add_co_ci_u32_e64 v5, s0, s5, v35, s0
	v_add_co_u32 v2, s0, v4, s4
	v_add_co_ci_u32_e64 v3, s0, s5, v5, s0
	;; [unrolled: 2-line block ×3, first 2 shown]
	global_store_dwordx4 v[42:43], v[12:15], off
	global_store_dwordx4 v[34:35], v[16:19], off
	global_store_dwordx4 v[4:5], v[20:23], off
	global_store_dwordx4 v[2:3], v[24:27], off
	global_store_dwordx4 v[0:1], v[28:31], off
	s_and_b32 exec_lo, exec_lo, vcc_lo
	s_cbranch_execz .LBB0_15
; %bb.14:
	global_load_dwordx4 v[2:5], v[112:113], off offset:1456
	ds_read_b128 v[6:9], v132 offset:1456
	ds_read_b128 v[10:13], v132 offset:3808
	s_mul_i32 s0, s9, 0xffff9770
	s_sub_i32 s0, s0, s8
	s_waitcnt vmcnt(0) lgkmcnt(1)
	v_mul_f64 v[14:15], v[8:9], v[4:5]
	v_mul_f64 v[4:5], v[6:7], v[4:5]
	v_fma_f64 v[6:7], v[6:7], v[2:3], v[14:15]
	v_fma_f64 v[4:5], v[2:3], v[8:9], -v[4:5]
	v_mul_f64 v[2:3], v[6:7], s[2:3]
	v_mul_f64 v[4:5], v[4:5], s[2:3]
	v_mad_u64_u32 v[6:7], null, 0xffff9770, s8, v[0:1]
	v_add_nc_u32_e32 v7, s0, v7
	global_store_dwordx4 v[6:7], v[2:5], off
	s_clause 0x1
	buffer_load_dword v0, off, s[48:51], 0 offset:100
	buffer_load_dword v1, off, s[48:51], 0 offset:104
	s_waitcnt vmcnt(0)
	global_load_dwordx4 v[0:3], v[0:1], off offset:1760
	s_waitcnt vmcnt(0) lgkmcnt(0)
	v_mul_f64 v[4:5], v[12:13], v[2:3]
	v_mul_f64 v[2:3], v[10:11], v[2:3]
	v_fma_f64 v[4:5], v[10:11], v[0:1], v[4:5]
	v_fma_f64 v[2:3], v[0:1], v[12:13], -v[2:3]
	v_add_co_u32 v12, vcc_lo, v6, s4
	v_add_co_ci_u32_e32 v13, vcc_lo, s5, v7, vcc_lo
	v_mul_f64 v[0:1], v[4:5], s[2:3]
	v_mul_f64 v[2:3], v[2:3], s[2:3]
	global_store_dwordx4 v[12:13], v[0:3], off
	s_clause 0x1
	buffer_load_dword v0, off, s[48:51], 0 offset:156
	buffer_load_dword v1, off, s[48:51], 0 offset:160
	s_waitcnt vmcnt(0)
	global_load_dwordx4 v[0:3], v[0:1], off offset:16
	ds_read_b128 v[4:7], v132 offset:6160
	ds_read_b128 v[8:11], v132 offset:8512
	s_waitcnt vmcnt(0) lgkmcnt(1)
	v_mul_f64 v[14:15], v[6:7], v[2:3]
	v_mul_f64 v[2:3], v[4:5], v[2:3]
	v_fma_f64 v[4:5], v[4:5], v[0:1], v[14:15]
	v_fma_f64 v[2:3], v[0:1], v[6:7], -v[2:3]
	v_mul_f64 v[0:1], v[4:5], s[2:3]
	v_mul_f64 v[2:3], v[2:3], s[2:3]
	v_add_co_u32 v4, vcc_lo, v12, s4
	v_add_co_ci_u32_e32 v5, vcc_lo, s5, v13, vcc_lo
	v_add_co_u32 v12, vcc_lo, v4, s4
	v_add_co_ci_u32_e32 v13, vcc_lo, s5, v5, vcc_lo
	global_store_dwordx4 v[4:5], v[0:3], off
	s_clause 0x1
	buffer_load_dword v0, off, s[48:51], 0 offset:132
	buffer_load_dword v1, off, s[48:51], 0 offset:136
	s_waitcnt vmcnt(0)
	global_load_dwordx4 v[0:3], v[0:1], off offset:320
	s_waitcnt vmcnt(0) lgkmcnt(0)
	v_mul_f64 v[6:7], v[10:11], v[2:3]
	v_mul_f64 v[2:3], v[8:9], v[2:3]
	v_fma_f64 v[6:7], v[8:9], v[0:1], v[6:7]
	v_fma_f64 v[2:3], v[0:1], v[10:11], -v[2:3]
	v_mul_f64 v[0:1], v[6:7], s[2:3]
	v_mul_f64 v[2:3], v[2:3], s[2:3]
	global_store_dwordx4 v[12:13], v[0:3], off
	s_clause 0x1
	buffer_load_dword v0, off, s[48:51], 0 offset:124
	buffer_load_dword v1, off, s[48:51], 0 offset:128
	s_waitcnt vmcnt(0)
	global_load_dwordx4 v[0:3], v[0:1], off offset:624
	ds_read_b128 v[4:7], v132 offset:10864
	ds_read_b128 v[8:11], v132 offset:13216
	s_waitcnt vmcnt(0) lgkmcnt(1)
	v_mul_f64 v[14:15], v[6:7], v[2:3]
	v_mul_f64 v[2:3], v[4:5], v[2:3]
	v_fma_f64 v[4:5], v[4:5], v[0:1], v[14:15]
	v_fma_f64 v[2:3], v[0:1], v[6:7], -v[2:3]
	v_mul_f64 v[0:1], v[4:5], s[2:3]
	v_mul_f64 v[2:3], v[2:3], s[2:3]
	v_add_co_u32 v4, vcc_lo, v12, s4
	v_add_co_ci_u32_e32 v5, vcc_lo, s5, v13, vcc_lo
	v_add_co_u32 v12, vcc_lo, v4, s4
	v_add_co_ci_u32_e32 v13, vcc_lo, s5, v5, vcc_lo
	global_store_dwordx4 v[4:5], v[0:3], off
	s_clause 0x1
	buffer_load_dword v0, off, s[48:51], 0 offset:108
	buffer_load_dword v1, off, s[48:51], 0 offset:112
	v_add_co_u32 v4, vcc_lo, 0x3800, v112
	v_add_co_ci_u32_e32 v5, vcc_lo, 0, v113, vcc_lo
	s_waitcnt vmcnt(0)
	global_load_dwordx4 v[0:3], v[0:1], off offset:928
	s_waitcnt vmcnt(0) lgkmcnt(0)
	v_mul_f64 v[6:7], v[10:11], v[2:3]
	v_mul_f64 v[2:3], v[8:9], v[2:3]
	v_fma_f64 v[6:7], v[8:9], v[0:1], v[6:7]
	v_fma_f64 v[2:3], v[0:1], v[10:11], -v[2:3]
	v_mul_f64 v[0:1], v[6:7], s[2:3]
	v_mul_f64 v[2:3], v[2:3], s[2:3]
	global_store_dwordx4 v[12:13], v[0:3], off
	global_load_dwordx4 v[0:3], v[4:5], off offset:1232
	ds_read_b128 v[4:7], v132 offset:15568
	ds_read_b128 v[8:11], v132 offset:17920
	s_waitcnt vmcnt(0) lgkmcnt(1)
	v_mul_f64 v[14:15], v[6:7], v[2:3]
	v_mul_f64 v[2:3], v[4:5], v[2:3]
	v_fma_f64 v[4:5], v[4:5], v[0:1], v[14:15]
	v_fma_f64 v[2:3], v[0:1], v[6:7], -v[2:3]
	v_mul_f64 v[0:1], v[4:5], s[2:3]
	v_mul_f64 v[2:3], v[2:3], s[2:3]
	v_add_co_u32 v4, vcc_lo, v12, s4
	v_add_co_ci_u32_e32 v5, vcc_lo, s5, v13, vcc_lo
	v_add_co_u32 v12, vcc_lo, v4, s4
	v_add_co_ci_u32_e32 v13, vcc_lo, s5, v5, vcc_lo
	global_store_dwordx4 v[4:5], v[0:3], off
	s_clause 0x1
	buffer_load_dword v0, off, s[48:51], 0 offset:92
	buffer_load_dword v1, off, s[48:51], 0 offset:96
	s_waitcnt vmcnt(0)
	global_load_dwordx4 v[0:3], v[0:1], off offset:1536
	s_waitcnt vmcnt(0) lgkmcnt(0)
	v_mul_f64 v[6:7], v[10:11], v[2:3]
	v_mul_f64 v[2:3], v[8:9], v[2:3]
	v_fma_f64 v[6:7], v[8:9], v[0:1], v[6:7]
	v_fma_f64 v[2:3], v[0:1], v[10:11], -v[2:3]
	v_mul_f64 v[0:1], v[6:7], s[2:3]
	v_mul_f64 v[2:3], v[2:3], s[2:3]
	global_store_dwordx4 v[12:13], v[0:3], off
	s_clause 0x1
	buffer_load_dword v0, off, s[48:51], 0 offset:84
	buffer_load_dword v1, off, s[48:51], 0 offset:88
	s_waitcnt vmcnt(0)
	global_load_dwordx4 v[0:3], v[0:1], off offset:1840
	ds_read_b128 v[4:7], v132 offset:20272
	ds_read_b128 v[8:11], v132 offset:22624
	s_waitcnt vmcnt(0) lgkmcnt(1)
	v_mul_f64 v[14:15], v[6:7], v[2:3]
	v_mul_f64 v[2:3], v[4:5], v[2:3]
	v_fma_f64 v[4:5], v[4:5], v[0:1], v[14:15]
	v_fma_f64 v[2:3], v[0:1], v[6:7], -v[2:3]
	v_mul_f64 v[0:1], v[4:5], s[2:3]
	v_mul_f64 v[2:3], v[2:3], s[2:3]
	v_add_co_u32 v4, vcc_lo, v12, s4
	v_add_co_ci_u32_e32 v5, vcc_lo, s5, v13, vcc_lo
	v_add_co_u32 v12, vcc_lo, v4, s4
	v_add_co_ci_u32_e32 v13, vcc_lo, s5, v5, vcc_lo
	global_store_dwordx4 v[4:5], v[0:3], off
	s_clause 0x1
	buffer_load_dword v0, off, s[48:51], 0 offset:148
	buffer_load_dword v1, off, s[48:51], 0 offset:152
	s_waitcnt vmcnt(0)
	global_load_dwordx4 v[0:3], v[0:1], off offset:96
	s_waitcnt vmcnt(0) lgkmcnt(0)
	v_mul_f64 v[6:7], v[10:11], v[2:3]
	v_mul_f64 v[2:3], v[8:9], v[2:3]
	v_fma_f64 v[6:7], v[8:9], v[0:1], v[6:7]
	v_fma_f64 v[2:3], v[0:1], v[10:11], -v[2:3]
	v_mul_f64 v[0:1], v[6:7], s[2:3]
	v_mul_f64 v[2:3], v[2:3], s[2:3]
	global_store_dwordx4 v[12:13], v[0:3], off
	s_clause 0x1
	buffer_load_dword v0, off, s[48:51], 0 offset:140
	buffer_load_dword v1, off, s[48:51], 0 offset:144
	s_waitcnt vmcnt(0)
	global_load_dwordx4 v[0:3], v[0:1], off offset:400
	ds_read_b128 v[4:7], v132 offset:24976
	ds_read_b128 v[8:11], v132 offset:27328
	s_waitcnt vmcnt(0) lgkmcnt(1)
	v_mul_f64 v[14:15], v[6:7], v[2:3]
	v_mul_f64 v[2:3], v[4:5], v[2:3]
	v_fma_f64 v[4:5], v[4:5], v[0:1], v[14:15]
	v_fma_f64 v[2:3], v[0:1], v[6:7], -v[2:3]
	v_mul_f64 v[0:1], v[4:5], s[2:3]
	v_mul_f64 v[2:3], v[2:3], s[2:3]
	v_add_co_u32 v4, vcc_lo, v12, s4
	v_add_co_ci_u32_e32 v5, vcc_lo, s5, v13, vcc_lo
	global_store_dwordx4 v[4:5], v[0:3], off
	s_clause 0x1
	buffer_load_dword v0, off, s[48:51], 0 offset:116
	buffer_load_dword v1, off, s[48:51], 0 offset:120
	s_waitcnt vmcnt(0)
	global_load_dwordx4 v[0:3], v[0:1], off offset:704
	s_waitcnt vmcnt(0) lgkmcnt(0)
	v_mul_f64 v[6:7], v[10:11], v[2:3]
	v_mul_f64 v[2:3], v[8:9], v[2:3]
	v_fma_f64 v[6:7], v[8:9], v[0:1], v[6:7]
	v_fma_f64 v[2:3], v[0:1], v[10:11], -v[2:3]
	v_add_co_u32 v8, vcc_lo, v4, s4
	v_add_co_ci_u32_e32 v9, vcc_lo, s5, v5, vcc_lo
	v_mul_f64 v[0:1], v[6:7], s[2:3]
	v_mul_f64 v[2:3], v[2:3], s[2:3]
	ds_read_b128 v[4:7], v132 offset:29680
	global_store_dwordx4 v[8:9], v[0:3], off
	global_load_dwordx4 v[0:3], v[190:191], off offset:1008
	s_waitcnt vmcnt(0) lgkmcnt(0)
	v_mul_f64 v[10:11], v[6:7], v[2:3]
	v_mul_f64 v[2:3], v[4:5], v[2:3]
	v_fma_f64 v[4:5], v[4:5], v[0:1], v[10:11]
	v_fma_f64 v[2:3], v[0:1], v[6:7], -v[2:3]
	v_mul_f64 v[0:1], v[4:5], s[2:3]
	v_mul_f64 v[2:3], v[2:3], s[2:3]
	v_add_co_u32 v4, vcc_lo, v8, s4
	v_add_co_ci_u32_e32 v5, vcc_lo, s5, v9, vcc_lo
	global_store_dwordx4 v[4:5], v[0:3], off
.LBB0_15:
	s_endpgm
	.section	.rodata,"a",@progbits
	.p2align	6, 0x0
	.amdhsa_kernel bluestein_single_fwd_len1911_dim1_dp_op_CI_CI
		.amdhsa_group_segment_fixed_size 30576
		.amdhsa_private_segment_fixed_size 796
		.amdhsa_kernarg_size 104
		.amdhsa_user_sgpr_count 6
		.amdhsa_user_sgpr_private_segment_buffer 1
		.amdhsa_user_sgpr_dispatch_ptr 0
		.amdhsa_user_sgpr_queue_ptr 0
		.amdhsa_user_sgpr_kernarg_segment_ptr 1
		.amdhsa_user_sgpr_dispatch_id 0
		.amdhsa_user_sgpr_flat_scratch_init 0
		.amdhsa_user_sgpr_private_segment_size 0
		.amdhsa_wavefront_size32 1
		.amdhsa_uses_dynamic_stack 0
		.amdhsa_system_sgpr_private_segment_wavefront_offset 1
		.amdhsa_system_sgpr_workgroup_id_x 1
		.amdhsa_system_sgpr_workgroup_id_y 0
		.amdhsa_system_sgpr_workgroup_id_z 0
		.amdhsa_system_sgpr_workgroup_info 0
		.amdhsa_system_vgpr_workitem_id 0
		.amdhsa_next_free_vgpr 256
		.amdhsa_next_free_sgpr 52
		.amdhsa_reserve_vcc 1
		.amdhsa_reserve_flat_scratch 0
		.amdhsa_float_round_mode_32 0
		.amdhsa_float_round_mode_16_64 0
		.amdhsa_float_denorm_mode_32 3
		.amdhsa_float_denorm_mode_16_64 3
		.amdhsa_dx10_clamp 1
		.amdhsa_ieee_mode 1
		.amdhsa_fp16_overflow 0
		.amdhsa_workgroup_processor_mode 1
		.amdhsa_memory_ordered 1
		.amdhsa_forward_progress 0
		.amdhsa_shared_vgpr_count 0
		.amdhsa_exception_fp_ieee_invalid_op 0
		.amdhsa_exception_fp_denorm_src 0
		.amdhsa_exception_fp_ieee_div_zero 0
		.amdhsa_exception_fp_ieee_overflow 0
		.amdhsa_exception_fp_ieee_underflow 0
		.amdhsa_exception_fp_ieee_inexact 0
		.amdhsa_exception_int_div_zero 0
	.end_amdhsa_kernel
	.text
.Lfunc_end0:
	.size	bluestein_single_fwd_len1911_dim1_dp_op_CI_CI, .Lfunc_end0-bluestein_single_fwd_len1911_dim1_dp_op_CI_CI
                                        ; -- End function
	.section	.AMDGPU.csdata,"",@progbits
; Kernel info:
; codeLenInByte = 43252
; NumSgprs: 54
; NumVgprs: 256
; ScratchSize: 796
; MemoryBound: 0
; FloatMode: 240
; IeeeMode: 1
; LDSByteSize: 30576 bytes/workgroup (compile time only)
; SGPRBlocks: 6
; VGPRBlocks: 31
; NumSGPRsForWavesPerEU: 54
; NumVGPRsForWavesPerEU: 256
; Occupancy: 3
; WaveLimiterHint : 1
; COMPUTE_PGM_RSRC2:SCRATCH_EN: 1
; COMPUTE_PGM_RSRC2:USER_SGPR: 6
; COMPUTE_PGM_RSRC2:TRAP_HANDLER: 0
; COMPUTE_PGM_RSRC2:TGID_X_EN: 1
; COMPUTE_PGM_RSRC2:TGID_Y_EN: 0
; COMPUTE_PGM_RSRC2:TGID_Z_EN: 0
; COMPUTE_PGM_RSRC2:TIDIG_COMP_CNT: 0
	.text
	.p2alignl 6, 3214868480
	.fill 48, 4, 3214868480
	.type	__hip_cuid_57eaaaf19ad38e8a,@object ; @__hip_cuid_57eaaaf19ad38e8a
	.section	.bss,"aw",@nobits
	.globl	__hip_cuid_57eaaaf19ad38e8a
__hip_cuid_57eaaaf19ad38e8a:
	.byte	0                               ; 0x0
	.size	__hip_cuid_57eaaaf19ad38e8a, 1

	.ident	"AMD clang version 19.0.0git (https://github.com/RadeonOpenCompute/llvm-project roc-6.4.0 25133 c7fe45cf4b819c5991fe208aaa96edf142730f1d)"
	.section	".note.GNU-stack","",@progbits
	.addrsig
	.addrsig_sym __hip_cuid_57eaaaf19ad38e8a
	.amdgpu_metadata
---
amdhsa.kernels:
  - .args:
      - .actual_access:  read_only
        .address_space:  global
        .offset:         0
        .size:           8
        .value_kind:     global_buffer
      - .actual_access:  read_only
        .address_space:  global
        .offset:         8
        .size:           8
        .value_kind:     global_buffer
      - .actual_access:  read_only
        .address_space:  global
        .offset:         16
        .size:           8
        .value_kind:     global_buffer
      - .actual_access:  read_only
        .address_space:  global
        .offset:         24
        .size:           8
        .value_kind:     global_buffer
      - .actual_access:  read_only
        .address_space:  global
        .offset:         32
        .size:           8
        .value_kind:     global_buffer
      - .offset:         40
        .size:           8
        .value_kind:     by_value
      - .address_space:  global
        .offset:         48
        .size:           8
        .value_kind:     global_buffer
      - .address_space:  global
        .offset:         56
        .size:           8
        .value_kind:     global_buffer
      - .address_space:  global
        .offset:         64
        .size:           8
        .value_kind:     global_buffer
      - .address_space:  global
        .offset:         72
        .size:           8
        .value_kind:     global_buffer
      - .offset:         80
        .size:           4
        .value_kind:     by_value
      - .address_space:  global
        .offset:         88
        .size:           8
        .value_kind:     global_buffer
      - .address_space:  global
        .offset:         96
        .size:           8
        .value_kind:     global_buffer
    .group_segment_fixed_size: 30576
    .kernarg_segment_align: 8
    .kernarg_segment_size: 104
    .language:       OpenCL C
    .language_version:
      - 2
      - 0
    .max_flat_workgroup_size: 91
    .name:           bluestein_single_fwd_len1911_dim1_dp_op_CI_CI
    .private_segment_fixed_size: 796
    .sgpr_count:     54
    .sgpr_spill_count: 0
    .symbol:         bluestein_single_fwd_len1911_dim1_dp_op_CI_CI.kd
    .uniform_work_group_size: 1
    .uses_dynamic_stack: false
    .vgpr_count:     256
    .vgpr_spill_count: 244
    .wavefront_size: 32
    .workgroup_processor_mode: 1
amdhsa.target:   amdgcn-amd-amdhsa--gfx1030
amdhsa.version:
  - 1
  - 2
...

	.end_amdgpu_metadata
